;; amdgpu-corpus repo=zjin-lcf/HeCBench kind=compiled arch=gfx950 opt=O3
	.amdgcn_target "amdgcn-amd-amdhsa--gfx950"
	.amdhsa_code_object_version 6
	.text
	.protected	_Z2hwi13params_commonPKfPiS2_S2_S2_S2_S2_S2_S2_PfS3_S3_S3_S3_S3_S3_S3_S3_S3_S3_S3_S3_S3_S3_S3_S3_S3_S3_S3_S3_S3_ ; -- Begin function _Z2hwi13params_commonPKfPiS2_S2_S2_S2_S2_S2_S2_PfS3_S3_S3_S3_S3_S3_S3_S3_S3_S3_S3_S3_S3_S3_S3_S3_S3_S3_S3_S3_S3_
	.globl	_Z2hwi13params_commonPKfPiS2_S2_S2_S2_S2_S2_S2_PfS3_S3_S3_S3_S3_S3_S3_S3_S3_S3_S3_S3_S3_S3_S3_S3_S3_S3_S3_S3_S3_
	.p2align	8
	.type	_Z2hwi13params_commonPKfPiS2_S2_S2_S2_S2_S2_S2_PfS3_S3_S3_S3_S3_S3_S3_S3_S3_S3_S3_S3_S3_S3_S3_S3_S3_S3_S3_S3_S3_,@function
_Z2hwi13params_commonPKfPiS2_S2_S2_S2_S2_S2_S2_PfS3_S3_S3_S3_S3_S3_S3_S3_S3_S3_S3_S3_S3_S3_S3_S3_S3_S3_S3_S3_S3_: ; @_Z2hwi13params_commonPKfPiS2_S2_S2_S2_S2_S2_S2_PfS3_S3_S3_S3_S3_S3_S3_S3_S3_S3_S3_S3_S3_S3_S3_S3_S3_S3_S3_S3_S3_
; %bb.0:
	s_load_dwordx8 s[24:31], s[0:1], 0x188
	s_load_dword s34, s[0:1], 0x0
	s_load_dwordx4 s[76:79], s[0:1], 0x20
	s_load_dword s3, s[0:1], 0x38
	s_load_dwordx4 s[12:15], s[0:1], 0x1c8
	s_load_dwordx2 s[16:17], s[0:1], 0x1d8
	s_load_dwordx8 s[4:11], s[0:1], 0x1a8
	s_load_dwordx4 s[80:83], s[0:1], 0x4c
	s_waitcnt lgkmcnt(0)
	s_cmp_lt_i32 s2, s3
	s_cselect_b64 s[18:19], -1, 0
	s_and_b64 s[20:21], s[18:19], exec
	s_cselect_b32 s3, 0, s3
	s_sub_i32 s46, s2, s3
	s_and_b64 s[20:21], s[18:19], exec
	s_cselect_b32 s20, s4, s12
	s_mul_i32 s4, s46, s82
	s_cselect_b32 s51, s27, s7
	s_cselect_b32 s91, s26, s6
	;; [unrolled: 1-line block ×7, first 2 shown]
	s_ashr_i32 s5, s4, 31
	s_and_b64 s[6:7], s[18:19], exec
	s_cselect_b32 s6, s14, s16
                                        ; implicit-def: $vgpr37 : SGPR spill to VGPR lane
	s_cselect_b32 s3, s15, s17
	s_lshl_b64 s[4:5], s[4:5], 2
	v_writelane_b32 v37, s6, 0
	s_add_u32 s22, s6, s4
	v_writelane_b32 v37, s3, 1
	v_writelane_b32 v37, s4, 2
	s_addc_u32 s23, s3, s5
	s_cmp_lg_u32 s34, 0
	v_writelane_b32 v37, s5, 3
	v_writelane_b32 v37, s34, 4
	s_cbranch_scc0 .LBB0_266
; %bb.1:
	s_or_b32 s12, s0, 4
	s_mov_b32 s13, s1
	s_load_dwordx4 s[8:11], s[12:13], 0x5c
	s_load_dwordx2 s[4:5], s[12:13], 0x10
	v_writelane_b32 v37, s20, 5
	s_load_dwordx2 s[14:15], s[0:1], 0x240
	s_load_dwordx4 s[16:19], s[0:1], 0x1e0
	s_load_dwordx8 s[68:75], s[12:13], 0x7c
	s_waitcnt lgkmcnt(0)
	v_cmp_gt_i32_e32 vcc, s10, v0
	v_writelane_b32 v37, s4, 6
	s_nop 1
	v_writelane_b32 v37, s5, 7
	s_mul_i32 s4, s10, s2
	s_ashr_i32 s5, s4, 31
	s_lshl_b64 s[86:87], s[4:5], 2
	s_add_u32 s84, s16, s86
	v_writelane_b32 v37, s16, 8
	s_addc_u32 s85, s17, s87
	s_ashr_i32 s47, s46, 31
	v_writelane_b32 v37, s17, 9
	s_lshl_b64 s[4:5], s[46:47], 2
	v_writelane_b32 v37, s18, 10
	s_add_u32 s6, s91, s4
	v_writelane_b32 v37, s19, 11
	s_addc_u32 s7, s51, s5
	v_writelane_b32 v37, s6, 12
	s_add_u32 s4, s33, s4
	s_addc_u32 s5, s44, s5
	v_writelane_b32 v37, s7, 13
	v_writelane_b32 v37, s4, 14
	s_nop 1
	v_writelane_b32 v37, s5, 15
	s_and_saveexec_b64 s[6:7], vcc
	s_cbranch_execz .LBB0_9
; %bb.2:
	v_readlane_b32 s4, v37, 14
	v_readlane_b32 s5, v37, 15
	s_load_dword s3, s[4:5], 0x0
	v_readlane_b32 s4, v37, 12
	v_readlane_b32 s5, v37, 13
	s_load_dword s4, s[4:5], 0x0
	s_nop 0
	s_load_dwordx2 s[16:17], s[12:13], 0x10
	v_xad_u32 v1, v0, -1, s10
	v_mov_b32_e32 v2, v0
	s_waitcnt lgkmcnt(0)
	s_sub_i32 s4, s4, s16
	s_not_b32 s5, s16
	s_add_i32 s11, s4, -2
	s_movk_i32 s4, 0xff
	s_add_i32 s3, s3, s5
	v_cmp_lt_u32_e32 vcc, s4, v1
	s_mov_b64 s[4:5], -1
	s_and_saveexec_b64 s[16:17], vcc
	s_cbranch_execz .LBB0_6
; %bb.3:
	v_lshrrev_b32_e32 v1, 8, v1
	s_abs_i32 s20, s8
	v_add_u32_e32 v6, 1, v1
	v_cvt_f32_u32_e32 v1, s20
	s_sub_i32 s4, 0, s20
	v_and_b32_e32 v7, 0x1fffffe, v6
	s_mov_b32 s31, s91
	v_rcp_iflag_f32_e32 v1, v1
	s_mov_b32 s21, s3
	s_mov_b32 s26, s11
	s_mov_b32 s27, s8
	v_mul_f32_e32 v1, 0x4f7ffffe, v1
	v_cvt_u32_f32_e32 v2, v1
	v_add_u32_e32 v1, 0x100, v0
	s_mov_b32 s28, s8
	s_mov_b32 s29, s78
	v_mul_lo_u32 v3, s4, v2
	v_mul_hi_u32 v3, v2, v3
	s_ashr_i32 s30, s8, 31
	v_add_u32_e32 v8, v2, v3
	v_mov_b32_e32 v3, 0
	s_mov_b64 s[18:19], 0
	v_mov_b32_e32 v9, s8
	v_mov_b32_e32 v10, s8
	;; [unrolled: 1-line block ×3, first 2 shown]
	v_mov_b64_e32 v[4:5], v[0:1]
.LBB0_4:                                ; =>This Inner Loop Header: Depth=1
	v_add_u32_e32 v2, 1, v4
	v_not_b32_e32 v12, v4
	v_add_u32_e32 v1, 1, v5
	v_not_b32_e32 v13, v5
	v_max_i32_e32 v12, v2, v12
	v_max_i32_e32 v13, v1, v13
	v_mul_hi_u32 v16, v12, v8
	v_mul_hi_u32 v17, v13, v8
	v_mul_lo_u32 v18, v16, s20
	v_mul_lo_u32 v20, v17, s20
	v_sub_u32_e32 v12, v12, v18
	v_add_u32_e32 v19, 1, v16
	v_sub_u32_e32 v13, v13, v20
	v_cmp_le_u32_e32 vcc, s20, v12
	v_subrev_u32_e32 v18, s20, v12
	v_add_u32_e32 v21, 1, v17
	v_cndmask_b32_e32 v16, v16, v19, vcc
	v_cmp_le_u32_e64 s[4:5], s20, v13
	v_subrev_u32_e32 v19, s20, v13
	v_cndmask_b32_e32 v12, v12, v18, vcc
	v_ashrrev_i32_e32 v14, 31, v2
	v_cndmask_b32_e64 v17, v17, v21, s[4:5]
	v_add_u32_e32 v18, 1, v16
	v_cndmask_b32_e64 v13, v13, v19, s[4:5]
	v_cmp_le_u32_e32 vcc, s20, v12
	v_ashrrev_i32_e32 v15, 31, v1
	v_xor_b32_e32 v14, s30, v14
	v_add_u32_e32 v19, 1, v17
	v_cndmask_b32_e32 v12, v16, v18, vcc
	v_cmp_le_u32_e32 vcc, s20, v13
	v_xor_b32_e32 v15, s30, v15
	v_xor_b32_e32 v12, v12, v14
	v_cndmask_b32_e32 v13, v17, v19, vcc
	v_xor_b32_e32 v13, v13, v15
	v_sub_u32_e32 v12, v12, v14
	v_sub_u32_e32 v13, v13, v15
	v_mul_lo_u32 v14, v12, s27
	v_mul_lo_u32 v15, v13, s28
	v_sub_u32_e32 v2, v2, v14
	v_add_u32_e32 v12, s3, v12
	v_sub_u32_e32 v1, v1, v15
	v_cmp_eq_u32_e64 s[4:5], 0, v2
	v_add_u32_e32 v13, s21, v13
	v_cmp_eq_u32_e32 vcc, 0, v1
	v_cndmask_b32_e64 v2, v2, v10, s[4:5]
	v_subbrev_co_u32_e64 v12, s[4:5], 0, v12, s[4:5]
	v_cndmask_b32_e32 v1, v1, v9, vcc
	v_subbrev_co_u32_e32 v13, vcc, 0, v13, vcc
	v_mul_lo_u32 v12, v12, s78
	v_mul_lo_u32 v13, v13, s29
	v_add3_u32 v12, s11, v2, v12
	v_add3_u32 v14, s26, v1, v13
	v_ashrrev_i32_e32 v13, 31, v12
	v_ashrrev_i32_e32 v15, 31, v14
	v_lshl_add_u64 v[12:13], v[12:13], 2, s[24:25]
	v_lshl_add_u64 v[14:15], v[14:15], 2, s[24:25]
	global_load_dword v1, v[12:13], off
	global_load_dword v16, v[14:15], off
	v_add_u32_e32 v11, -2, v11
	v_mov_b32_e32 v2, v4
	v_cmp_eq_u32_e32 vcc, 0, v11
	v_add_u32_e32 v4, 0x200, v4
	v_lshl_add_u64 v[12:13], v[2:3], 2, s[84:85]
	v_mov_b32_e32 v2, v5
	v_add_u32_e32 v5, 0x200, v5
	s_or_b64 s[18:19], vcc, s[18:19]
	v_lshl_add_u64 v[14:15], v[2:3], 2, s[84:85]
	s_waitcnt vmcnt(1)
	global_store_dword v[12:13], v1, off
	s_waitcnt vmcnt(1)
	global_store_dword v[14:15], v16, off
	s_andn2_b64 exec, exec, s[18:19]
	s_cbranch_execnz .LBB0_4
; %bb.5:
	s_or_b64 exec, exec, s[18:19]
	v_cmp_ne_u32_e32 vcc, v6, v7
	v_lshl_add_u32 v2, v7, 8, v0
	s_orn2_b64 s[4:5], vcc, exec
	s_mov_b32 s91, s31
.LBB0_6:
	s_or_b64 exec, exec, s[16:17]
	s_and_b64 exec, exec, s[4:5]
	s_cbranch_execz .LBB0_9
; %bb.7:
	s_abs_i32 s18, s8
	v_cvt_f32_u32_e32 v1, s18
	s_load_dwordx4 s[28:31], s[0:1], 0x1e0
	s_ashr_i32 s19, s8, 31
	s_sub_i32 s20, 0, s18
	v_rcp_iflag_f32_e32 v4, v1
	v_mov_b32_e32 v3, 0
	s_waitcnt lgkmcnt(0)
	s_add_u32 s16, s28, s86
	s_addc_u32 s17, s29, s87
	v_mul_f32_e32 v4, 0x4f7ffffe, v4
	v_cvt_u32_f32_e32 v6, v4
	v_lshl_add_u64 v[4:5], v[2:3], 2, s[16:17]
	s_mov_b64 s[4:5], 0
	v_mov_b32_e32 v1, s8
	v_mul_lo_u32 v3, s20, v6
	v_mul_hi_u32 v3, v6, v3
	v_add_u32_e32 v3, v6, v3
	s_mov_b64 s[16:17], 0x400
.LBB0_8:                                ; =>This Inner Loop Header: Depth=1
	v_add_u32_e32 v6, 1, v2
	v_not_b32_e32 v7, v2
	v_max_i32_e32 v7, v6, v7
	v_mul_hi_u32 v9, v7, v3
	v_mul_lo_u32 v10, v9, s18
	v_sub_u32_e32 v7, v7, v10
	v_add_u32_e32 v11, 1, v9
	v_cmp_le_u32_e32 vcc, s18, v7
	v_subrev_u32_e32 v10, s18, v7
	v_ashrrev_i32_e32 v8, 31, v6
	v_cndmask_b32_e32 v9, v9, v11, vcc
	v_cndmask_b32_e32 v7, v7, v10, vcc
	v_add_u32_e32 v10, 1, v9
	v_cmp_le_u32_e32 vcc, s18, v7
	v_xor_b32_e32 v8, s19, v8
	v_add_u32_e32 v2, 0x100, v2
	v_cndmask_b32_e32 v7, v9, v10, vcc
	v_xor_b32_e32 v7, v7, v8
	v_sub_u32_e32 v7, v7, v8
	v_mul_lo_u32 v8, v7, s8
	v_sub_u32_e32 v6, v6, v8
	v_add_u32_e32 v7, s3, v7
	v_cmp_eq_u32_e32 vcc, 0, v6
	s_nop 1
	v_cndmask_b32_e32 v6, v6, v1, vcc
	v_subbrev_co_u32_e32 v7, vcc, 0, v7, vcc
	v_mul_lo_u32 v7, v7, s78
	v_add3_u32 v6, s11, v6, v7
	v_ashrrev_i32_e32 v7, 31, v6
	v_lshl_add_u64 v[6:7], v[6:7], 2, s[24:25]
	global_load_dword v6, v[6:7], off
	v_cmp_le_i32_e32 vcc, s10, v2
	s_or_b64 s[4:5], vcc, s[4:5]
	s_waitcnt vmcnt(0)
	global_store_dword v[4:5], v6, off
	v_lshl_add_u64 v[4:5], v[4:5], 0, s[16:17]
	s_andn2_b64 exec, exec, s[4:5]
	s_cbranch_execnz .LBB0_8
.LBB0_9:
	s_or_b64 exec, exec, s[6:7]
	s_load_dwordx8 s[36:43], s[12:13], 0x13c
	s_load_dwordx4 s[28:31], s[12:13], 0x16c
	s_load_dwordx4 s[96:99], s[12:13], 0x11c
	s_waitcnt lgkmcnt(0)
	s_load_dword s31, s[12:13], 0x74
	s_mul_i32 s10, s82, s2
	s_ashr_i32 s11, s10, 31
	s_waitcnt lgkmcnt(0)
	s_barrier
	v_cmp_gt_i32_e64 s[4:5], s82, v0
	s_mov_b64 s[16:17], exec
	s_nop 0
	v_writelane_b32 v37, s4, 16
	s_nop 1
	v_writelane_b32 v37, s5, 17
	s_and_b64 s[4:5], s[16:17], s[4:5]
	s_mov_b64 exec, s[4:5]
	s_cbranch_execz .LBB0_17
; %bb.10:
	v_xad_u32 v1, v0, -1, s82
	s_movk_i32 s3, 0xff
	v_cmp_lt_u32_e32 vcc, s3, v1
	s_mov_b64 s[4:5], -1
	v_mov_b32_e32 v2, v0
	s_and_saveexec_b64 s[18:19], vcc
	s_cbranch_execz .LBB0_14
; %bb.11:
	s_lshl_b64 s[4:5], s[10:11], 2
	s_add_u32 s20, s14, s4
	s_addc_u32 s21, s15, s5
	s_abs_i32 s3, s80
	v_cvt_f32_u32_e32 v2, s3
	v_lshrrev_b32_e32 v3, 8, v1
	s_sub_i32 s4, 0, s3
	v_add_u32_e32 v6, 1, v3
	v_rcp_iflag_f32_e32 v2, v2
	v_add_u32_e32 v1, 0x100, v0
	v_and_b32_e32 v7, 0x1fffffe, v6
	s_mov_b32 s43, s91
	v_mul_f32_e32 v2, 0x4f7ffffe, v2
	v_cvt_u32_f32_e32 v2, v2
	s_mov_b32 s39, s33
	s_mov_b32 s33, s80
	;; [unrolled: 1-line block ×3, first 2 shown]
	v_mul_lo_u32 v3, s4, v2
	v_mul_hi_u32 v3, v2, v3
	s_ashr_i32 s35, s80, 31
	v_add_u32_e32 v8, v2, v3
	v_mov_b32_e32 v3, 0
	s_mov_b64 s[26:27], 0
	v_mov_b32_e32 v9, v7
	v_mov_b64_e32 v[4:5], v[0:1]
.LBB0_12:                               ; =>This Inner Loop Header: Depth=1
	v_add_u32_e32 v2, 1, v4
	v_not_b32_e32 v10, v4
	v_add_u32_e32 v1, 1, v5
	v_not_b32_e32 v11, v5
	v_max_i32_e32 v10, v2, v10
	v_max_i32_e32 v11, v1, v11
	v_mul_hi_u32 v14, v10, v8
	v_mul_hi_u32 v15, v11, v8
	v_mul_lo_u32 v16, v14, s3
	v_mul_lo_u32 v18, v15, s3
	v_sub_u32_e32 v10, v10, v16
	v_add_u32_e32 v17, 1, v14
	v_sub_u32_e32 v11, v11, v18
	v_cmp_le_u32_e32 vcc, s3, v10
	v_subrev_u32_e32 v16, s3, v10
	v_add_u32_e32 v19, 1, v15
	v_cndmask_b32_e32 v14, v14, v17, vcc
	v_cmp_le_u32_e64 s[4:5], s3, v11
	v_subrev_u32_e32 v17, s3, v11
	v_cndmask_b32_e32 v10, v10, v16, vcc
	v_cndmask_b32_e64 v15, v15, v19, s[4:5]
	v_add_u32_e32 v16, 1, v14
	v_cndmask_b32_e64 v11, v11, v17, s[4:5]
	v_cmp_le_u32_e32 vcc, s3, v10
	v_ashrrev_i32_e32 v13, 31, v1
	v_add_u32_e32 v17, 1, v15
	v_cndmask_b32_e32 v10, v14, v16, vcc
	v_cmp_le_u32_e32 vcc, s3, v11
	v_xor_b32_e32 v13, s35, v13
	v_ashrrev_i32_e32 v12, 31, v2
	v_cndmask_b32_e32 v11, v15, v17, vcc
	v_xor_b32_e32 v11, v11, v13
	v_xor_b32_e32 v12, s35, v12
	v_sub_u32_e32 v15, v11, v13
	v_xor_b32_e32 v10, v10, v12
	v_mul_lo_u32 v15, v15, s34
	v_sub_u32_e32 v14, v10, v12
	v_sub_u32_e32 v1, v1, v15
	v_mul_lo_u32 v14, v14, s33
	v_cmp_eq_u32_e32 vcc, 0, v1
	v_sub_u32_e32 v2, v2, v14
	v_sub_u32_e32 v1, s34, v1
	v_subb_co_u32_e64 v11, s[4:5], v11, v13, vcc
	v_cmp_eq_u32_e64 s[4:5], 0, v2
	v_add_u32_e32 v9, -2, v9
	s_nop 0
	v_subb_co_u32_e64 v12, s[6:7], v10, v12, s[4:5]
	v_sub_u32_e32 v10, s33, v2
	v_cndmask_b32_e64 v2, v1, 0, vcc
	v_xor_b32_e32 v1, -1, v11
	v_xor_b32_e32 v11, -1, v12
	v_cndmask_b32_e64 v10, v10, 0, s[4:5]
	v_add_u32_e32 v11, s33, v11
	v_add_u32_e32 v1, s34, v1
	v_mad_u64_u32 v[10:11], s[4:5], v11, s33, v[10:11]
	v_mad_u64_u32 v[12:13], s[4:5], v1, s34, v[2:3]
	v_ashrrev_i32_e32 v11, 31, v10
	v_ashrrev_i32_e32 v13, 31, v12
	v_lshl_add_u64 v[10:11], v[10:11], 2, s[22:23]
	v_lshl_add_u64 v[12:13], v[12:13], 2, s[22:23]
	global_load_dword v1, v[10:11], off
	global_load_dword v14, v[12:13], off
	v_mov_b32_e32 v2, v4
	v_cmp_eq_u32_e32 vcc, 0, v9
	v_add_u32_e32 v4, 0x200, v4
	v_lshl_add_u64 v[10:11], v[2:3], 2, s[20:21]
	v_mov_b32_e32 v2, v5
	v_add_u32_e32 v5, 0x200, v5
	s_or_b64 s[26:27], vcc, s[26:27]
	v_lshl_add_u64 v[12:13], v[2:3], 2, s[20:21]
	s_waitcnt vmcnt(1)
	global_store_dword v[10:11], v1, off
	s_waitcnt vmcnt(1)
	global_store_dword v[12:13], v14, off
	s_andn2_b64 exec, exec, s[26:27]
	s_cbranch_execnz .LBB0_12
; %bb.13:
	s_or_b64 exec, exec, s[26:27]
	v_cmp_ne_u32_e32 vcc, v6, v7
	v_lshl_add_u32 v2, v7, 8, v0
	s_orn2_b64 s[4:5], vcc, exec
	s_mov_b32 s33, s39
	s_mov_b32 s91, s43
.LBB0_14:
	s_or_b64 exec, exec, s[18:19]
	s_and_b64 exec, exec, s[4:5]
	s_cbranch_execz .LBB0_17
; %bb.15:
	s_abs_i32 s3, s80
	v_cvt_f32_u32_e32 v1, s3
	s_ashr_i32 s20, s80, 31
	s_lshl_b64 s[4:5], s[10:11], 2
	s_sub_i32 s18, 0, s3
	v_rcp_iflag_f32_e32 v1, v1
	s_add_u32 s4, s14, s4
	v_mov_b32_e32 v3, 0
	s_addc_u32 s5, s15, s5
	v_mul_f32_e32 v1, 0x4f7ffffe, v1
	v_cvt_u32_f32_e32 v1, v1
	v_lshl_add_u64 v[4:5], v[2:3], 2, s[4:5]
	s_mov_b64 s[6:7], 0
	v_mul_lo_u32 v3, s18, v1
	v_mul_hi_u32 v3, v1, v3
	v_add_u32_e32 v1, v1, v3
	s_mov_b64 s[18:19], 0x400
.LBB0_16:                               ; =>This Inner Loop Header: Depth=1
	v_add_u32_e32 v3, 1, v2
	v_not_b32_e32 v6, v2
	v_max_i32_e32 v6, v3, v6
	v_mul_hi_u32 v8, v6, v1
	v_mul_lo_u32 v9, v8, s3
	v_sub_u32_e32 v6, v6, v9
	v_add_u32_e32 v10, 1, v8
	v_cmp_le_u32_e32 vcc, s3, v6
	v_subrev_u32_e32 v9, s3, v6
	v_ashrrev_i32_e32 v7, 31, v3
	v_cndmask_b32_e32 v8, v8, v10, vcc
	v_cndmask_b32_e32 v6, v6, v9, vcc
	v_add_u32_e32 v9, 1, v8
	v_cmp_le_u32_e32 vcc, s3, v6
	v_xor_b32_e32 v7, s20, v7
	v_add_u32_e32 v2, 0x100, v2
	v_cndmask_b32_e32 v6, v8, v9, vcc
	v_xor_b32_e32 v6, v6, v7
	v_sub_u32_e32 v8, v6, v7
	v_mul_lo_u32 v8, v8, s80
	v_sub_u32_e32 v3, v3, v8
	v_cmp_eq_u32_e32 vcc, 0, v3
	v_sub_u32_e32 v3, s80, v3
	s_nop 0
	v_subb_co_u32_e64 v7, s[4:5], v6, v7, vcc
	v_cndmask_b32_e64 v6, v3, 0, vcc
	v_xad_u32 v3, v7, -1, s80
	v_mad_u64_u32 v[6:7], s[4:5], v3, s80, v[6:7]
	v_ashrrev_i32_e32 v7, 31, v6
	v_lshl_add_u64 v[6:7], v[6:7], 2, s[22:23]
	global_load_dword v3, v[6:7], off
	v_cmp_le_i32_e32 vcc, s82, v2
	s_or_b64 s[6:7], vcc, s[6:7]
	s_waitcnt vmcnt(0)
	global_store_dword v[4:5], v3, off
	v_lshl_add_u64 v[4:5], v[4:5], 0, s[18:19]
	s_andn2_b64 exec, exec, s[6:7]
	s_cbranch_execnz .LBB0_16
.LBB0_17:
	v_writelane_b32 v37, s49, 18
	v_writelane_b32 v37, s50, 19
	;; [unrolled: 1-line block ×4, first 2 shown]
	s_nop 1
	v_writelane_b32 v37, s47, 22
	v_writelane_b32 v37, s33, 23
	;; [unrolled: 1-line block ×3, first 2 shown]
	s_or_b64 exec, exec, s[16:17]
	s_load_dwordx2 s[4:5], s[0:1], 0x278
	s_load_dwordx8 s[52:59], s[0:1], 0x248
	s_waitcnt lgkmcnt(0)
	v_writelane_b32 v37, s4, 25
	s_nop 1
	v_writelane_b32 v37, s5, 26
	s_load_dwordx4 s[4:7], s[0:1], 0x268
	s_waitcnt lgkmcnt(0)
	v_writelane_b32 v37, s4, 27
	s_nop 1
	v_writelane_b32 v37, s5, 28
	v_writelane_b32 v37, s6, 29
	;; [unrolled: 1-line block ×4, first 2 shown]
	s_load_dwordx4 s[4:7], s[0:1], 0x230
	s_nop 0
	v_writelane_b32 v37, s53, 32
	v_writelane_b32 v37, s54, 33
	;; [unrolled: 1-line block ×7, first 2 shown]
	s_waitcnt lgkmcnt(0)
	v_writelane_b32 v37, s4, 39
	s_nop 1
	v_writelane_b32 v37, s5, 40
	v_writelane_b32 v37, s6, 41
	;; [unrolled: 1-line block ×3, first 2 shown]
	s_load_dwordx8 s[52:59], s[0:1], 0x210
	s_load_dwordx8 s[60:67], s[0:1], 0x1f0
	s_load_dword s83, s[12:13], 0x9c
	s_load_dword s99, s[12:13], 0xa4
	;; [unrolled: 1-line block ×8, first 2 shown]
	s_load_dwordx2 s[4:5], s[12:13], 0x15c
	s_load_dwordx2 s[0:1], s[12:13], 0x17c
	s_waitcnt lgkmcnt(0)
	s_barrier
	v_writelane_b32 v37, s0, 43
	s_nop 1
	v_writelane_b32 v37, s1, 44
	s_mul_i32 s0, s31, s2
	s_ashr_i32 s1, s0, 31
	v_readlane_b32 s16, v37, 8
	s_lshl_b64 s[0:1], s[0:1], 2
	v_readlane_b32 s18, v37, 10
	v_readlane_b32 s19, v37, 11
	s_add_u32 s88, s18, s0
	v_readlane_b32 s17, v37, 9
	v_writelane_b32 v37, s0, 45
	s_addc_u32 s89, s19, s1
	s_nop 0
	v_writelane_b32 v37, s1, 46
	v_cmp_gt_i32_e64 s[0:1], s31, v0
	s_mov_b64 s[6:7], exec
	s_nop 0
	v_writelane_b32 v37, s0, 47
	s_nop 1
	v_writelane_b32 v37, s1, 48
	s_and_b64 s[0:1], s[6:7], s[0:1]
	s_mov_b64 exec, s[0:1]
	s_cbranch_execz .LBB0_28
; %bb.18:
	s_load_dword s33, s[12:13], 0x6c
	s_sub_i32 s44, 0, s8
	s_add_i32 s45, s9, s69
	s_lshl_b64 s[0:1], s[10:11], 2
	v_mov_b32_e32 v3, 0
	s_waitcnt lgkmcnt(0)
	s_abs_i32 s46, s33
	v_cvt_f32_u32_e32 v1, s46
	s_ashr_i32 s47, s33, 31
	s_sub_i32 s3, 0, s46
	s_add_u32 s0, s14, s0
	v_rcp_iflag_f32_e32 v1, v1
	s_addc_u32 s1, s15, s1
	s_add_u32 s14, s0, -4
	s_mov_b64 s[10:11], 0
	v_mul_f32_e32 v1, 0x4f7ffffe, v1
	v_cvt_u32_f32_e32 v1, v1
	s_addc_u32 s15, s1, -1
	s_sub_i32 s48, 1, s8
	s_sub_i32 s50, 0, s9
	v_mul_lo_u32 v2, s3, v1
	v_mul_hi_u32 v2, v1, v2
	v_add_u32_e32 v1, v1, v2
	v_mov_b32_e32 v10, s69
	v_mov_b32_e32 v11, s33
	;; [unrolled: 1-line block ×3, first 2 shown]
	s_branch .LBB0_21
.LBB0_19:                               ;   in Loop: Header=BB0_21 Depth=1
	s_or_b64 exec, exec, s[18:19]
.LBB0_20:                               ;   in Loop: Header=BB0_21 Depth=1
	s_or_b64 exec, exec, s[16:17]
	v_lshl_add_u64 v[4:5], v[2:3], 2, s[88:89]
	v_add_u32_e32 v2, 0x100, v2
	v_cmp_le_i32_e32 vcc, s31, v2
	s_or_b64 s[10:11], vcc, s[10:11]
	global_store_dword v[4:5], v14, off
	s_andn2_b64 exec, exec, s[10:11]
	s_cbranch_execz .LBB0_28
.LBB0_21:                               ; =>This Loop Header: Depth=1
                                        ;     Child Loop BB0_24 Depth 2
                                        ;       Child Loop BB0_26 Depth 3
	v_add_u32_e32 v6, 1, v2
	v_not_b32_e32 v5, v2
	v_max_i32_e32 v5, v6, v5
	v_mul_hi_u32 v7, v5, v1
	v_mul_lo_u32 v8, v7, s46
	v_sub_u32_e32 v5, v5, v8
	v_add_u32_e32 v8, 1, v7
	v_cmp_le_u32_e32 vcc, s46, v5
	v_ashrrev_i32_e32 v4, 31, v6
	v_xor_b32_e32 v4, s47, v4
	v_cndmask_b32_e32 v7, v7, v8, vcc
	v_subrev_u32_e32 v8, s46, v5
	v_cndmask_b32_e32 v5, v5, v8, vcc
	v_add_u32_e32 v8, 1, v7
	v_cmp_le_u32_e32 vcc, s46, v5
	v_mov_b32_e32 v14, 0
	s_nop 0
	v_cndmask_b32_e32 v5, v7, v8, vcc
	v_xor_b32_e32 v5, v5, v4
	v_sub_u32_e32 v8, v5, v4
	v_mul_lo_u32 v7, v8, s33
	v_sub_u32_e32 v7, v6, v7
	v_cmp_ne_u32_e32 vcc, 0, v7
	s_nop 1
	v_addc_co_u32_e64 v6, s[0:1], v8, v10, vcc
	v_subrev_u32_e32 v8, s9, v6
	v_add_u32_e32 v8, 1, v8
	v_cmp_le_i32_e64 s[0:1], s9, v6
	v_min_i32_e32 v12, s81, v6
	s_nop 0
	v_cndmask_b32_e64 v13, 1, v8, s[0:1]
	v_cmp_le_i32_e64 s[0:1], v13, v12
	s_and_saveexec_b64 s[16:17], s[0:1]
	s_cbranch_execz .LBB0_20
; %bb.22:                               ;   in Loop: Header=BB0_21 Depth=1
	v_cndmask_b32_e32 v7, v11, v7, vcc
	v_cndmask_b32_e64 v9, 0, 1, vcc
	v_add_u32_e32 v8, s68, v7
	v_subrev_u32_e32 v7, s8, v8
	v_add3_u32 v5, s45, v5, v9
	v_add_u32_e32 v7, 1, v7
	v_cmp_le_i32_e32 vcc, s8, v8
	v_sub_u32_e32 v4, v5, v4
	v_max_i32_e32 v6, s9, v6
	v_cndmask_b32_e32 v7, 1, v7, vcc
	v_min_i32_e32 v15, s80, v8
	v_sub_u32_e32 v4, v4, v6
	v_cmp_le_i32_e32 vcc, v7, v15
	v_max_i32_e32 v7, s8, v8
	v_mad_u64_u32 v[4:5], s[0:1], s8, v4, v[8:9]
	v_sub_u32_e32 v17, v4, v7
	v_add_u32_e32 v4, s50, v6
	v_mul_lo_u32 v4, s80, v4
	v_add_u32_e32 v16, s44, v7
	v_add3_u32 v4, s48, v7, v4
	v_mov_b32_e32 v14, 0
	s_mov_b64 s[18:19], 0
	s_branch .LBB0_24
.LBB0_23:                               ;   in Loop: Header=BB0_24 Depth=2
	s_or_b64 exec, exec, s[26:27]
	v_add_u32_e32 v5, 1, v13
	v_cmp_ge_i32_e64 s[0:1], v13, v12
	v_subrev_u32_e32 v17, s8, v17
	v_add_u32_e32 v4, s80, v4
	s_or_b64 s[18:19], s[0:1], s[18:19]
	v_mov_b32_e32 v13, v5
	s_andn2_b64 exec, exec, s[18:19]
	s_cbranch_execz .LBB0_19
.LBB0_24:                               ;   Parent Loop BB0_21 Depth=1
                                        ; =>  This Loop Header: Depth=2
                                        ;       Child Loop BB0_26 Depth 3
	s_and_saveexec_b64 s[26:27], vcc
	s_cbranch_execz .LBB0_23
; %bb.25:                               ;   in Loop: Header=BB0_24 Depth=2
	v_ashrrev_i32_e32 v5, 31, v4
	v_lshl_add_u64 v[6:7], v[4:5], 2, s[14:15]
	s_mov_b64 s[34:35], 0
	v_mov_b32_e32 v8, v17
	v_mov_b32_e32 v5, v16
.LBB0_26:                               ;   Parent Loop BB0_21 Depth=1
                                        ;     Parent Loop BB0_24 Depth=2
                                        ; =>    This Inner Loop Header: Depth=3
	v_ashrrev_i32_e32 v9, 31, v8
	v_lshl_add_u64 v[18:19], v[8:9], 2, s[84:85]
	global_load_dword v20, v[6:7], off
	global_load_dword v9, v[18:19], off offset:-4
	v_add_u32_e32 v5, 1, v5
	v_cmp_ge_i32_e64 s[0:1], v5, v15
	v_lshl_add_u64 v[6:7], v[6:7], 0, 4
	v_add_u32_e32 v8, -1, v8
	s_or_b64 s[34:35], s[0:1], s[34:35]
	s_waitcnt vmcnt(0)
	v_fmac_f32_e32 v14, v20, v9
	s_andn2_b64 exec, exec, s[34:35]
	s_cbranch_execnz .LBB0_26
; %bb.27:                               ;   in Loop: Header=BB0_24 Depth=2
	s_or_b64 exec, exec, s[34:35]
	s_branch .LBB0_23
.LBB0_28:
	s_or_b64 exec, exec, s[6:7]
	s_load_dword s21, s[12:13], 0xac
	s_load_dword s68, s[12:13], 0xb4
	;; [unrolled: 1-line block ×5, first 2 shown]
	s_mul_i32 s6, s74, s2
	s_ashr_i32 s7, s6, 31
	v_lshlrev_b32_e32 v2, 2, v0
	s_waitcnt lgkmcnt(0)
	v_writelane_b32 v37, s0, 49
	s_load_dword s0, s[12:13], 0xf4
	s_barrier
	s_waitcnt lgkmcnt(0)
	v_writelane_b32 v37, s0, 50
	s_load_dword s0, s[12:13], 0xfc
	s_waitcnt lgkmcnt(0)
	v_writelane_b32 v37, s0, 51
	s_load_dword s0, s[12:13], 0x104
	;; [unrolled: 3-line block ×3, first 2 shown]
	s_waitcnt lgkmcnt(0)
	v_writelane_b32 v37, s0, 53
	v_cmp_gt_i32_e64 s[0:1], s74, v0
	s_mov_b64 s[10:11], exec
	s_nop 0
	v_writelane_b32 v37, s0, 54
	s_nop 1
	v_writelane_b32 v37, s1, 55
	s_and_b64 s[0:1], s[10:11], s[0:1]
	s_mov_b64 exec, s[0:1]
	s_cbranch_execz .LBB0_33
; %bb.29:
	s_abs_i32 s3, s72
	v_cvt_f32_u32_e32 v1, s3
	s_add_i32 s14, s70, s8
	s_add_i32 s9, s71, s9
	s_not_b32 s15, s70
	v_rcp_iflag_f32_e32 v1, v1
	s_ashr_i32 s16, s72, 31
	s_lshl_b64 s[0:1], s[6:7], 2
	s_sub_i32 s12, 0, s3
	v_mul_f32_e32 v1, 0x4f7ffffe, v1
	v_cvt_u32_f32_e32 v1, v1
	s_add_u32 s0, s60, s0
	v_mov_b32_e32 v3, 0
	s_addc_u32 s1, s61, s1
	v_mul_lo_u32 v4, s12, v1
	v_mul_hi_u32 v4, v1, v4
	v_add_u32_e32 v1, v1, v4
	v_lshl_add_u64 v[4:5], s[0:1], 0, v[2:3]
	s_mov_b64 s[12:13], 0
	v_mov_b32_e32 v3, s72
	v_mov_b32_e32 v6, v0
	s_branch .LBB0_31
.LBB0_30:                               ;   in Loop: Header=BB0_31 Depth=1
	s_or_b64 exec, exec, s[0:1]
	v_add_u32_e32 v6, 0x100, v6
	v_cmp_le_i32_e32 vcc, s74, v6
	s_mov_b64 s[0:1], 0x400
	s_waitcnt vmcnt(0)
	global_store_dword v[4:5], v9, off
	s_or_b64 s[12:13], vcc, s[12:13]
	v_lshl_add_u64 v[4:5], v[4:5], 0, s[0:1]
	s_andn2_b64 exec, exec, s[12:13]
	s_cbranch_execz .LBB0_33
.LBB0_31:                               ; =>This Inner Loop Header: Depth=1
	v_add_u32_e32 v7, 1, v6
	v_not_b32_e32 v9, v6
	v_max_i32_e32 v9, v7, v9
	v_mul_hi_u32 v10, v9, v1
	v_mul_lo_u32 v11, v10, s3
	v_sub_u32_e32 v9, v9, v11
	v_add_u32_e32 v11, 1, v10
	v_cmp_le_u32_e32 vcc, s3, v9
	v_ashrrev_i32_e32 v8, 31, v7
	v_xor_b32_e32 v8, s16, v8
	v_cndmask_b32_e32 v10, v10, v11, vcc
	v_subrev_u32_e32 v11, s3, v9
	v_cndmask_b32_e32 v9, v9, v11, vcc
	v_add_u32_e32 v11, 1, v10
	v_cmp_le_u32_e32 vcc, s3, v9
	s_nop 1
	v_cndmask_b32_e32 v9, v10, v11, vcc
	v_xor_b32_e32 v9, v9, v8
	v_sub_u32_e32 v10, v9, v8
	v_mul_lo_u32 v10, v10, s72
	v_sub_u32_e32 v7, v7, v10
	v_cmp_eq_u32_e32 vcc, 0, v7
	s_nop 1
	v_subb_co_u32_e64 v8, s[0:1], v9, v8, vcc
	v_cndmask_b32_e32 v7, v7, v3, vcc
	v_cmp_lt_i32_e32 vcc, s70, v7
	v_cmp_ge_i32_e64 s[0:1], s14, v7
	s_and_b64 s[0:1], vcc, s[0:1]
	v_cmp_le_i32_e32 vcc, s71, v8
	s_and_b64 s[0:1], s[0:1], vcc
	v_cmp_gt_i32_e32 vcc, s9, v8
	s_and_b64 s[18:19], s[0:1], vcc
	v_mov_b32_e32 v9, 0
	s_and_saveexec_b64 s[0:1], s[18:19]
	s_cbranch_execz .LBB0_30
; %bb.32:                               ;   in Loop: Header=BB0_31 Depth=1
	v_subrev_u32_e32 v8, s71, v8
	v_mul_lo_u32 v8, v8, s8
	v_add3_u32 v8, v7, s15, v8
	v_ashrrev_i32_e32 v9, 31, v8
	v_lshl_add_u64 v[8:9], v[8:9], 2, s[84:85]
	global_load_dword v9, v[8:9], off
	s_branch .LBB0_30
.LBB0_33:
	s_or_b64 exec, exec, s[10:11]
	v_mul_lo_u32 v4, v0, s72
	s_barrier
	v_cmp_gt_i32_e64 s[0:1], s73, v0
	s_mov_b64 s[8:9], exec
	s_nop 0
	v_writelane_b32 v37, s0, 56
	s_nop 1
	v_writelane_b32 v37, s1, 57
	s_and_b64 s[0:1], s[8:9], s[0:1]
	s_mov_b64 exec, s[0:1]
	s_cbranch_execz .LBB0_40
; %bb.34:
	s_cmp_gt_i32 s72, 0
	s_cselect_b64 s[0:1], -1, 0
	s_lshl_b64 s[10:11], s[6:7], 2
	s_add_u32 s10, s60, s10
	v_cndmask_b32_e64 v1, 0, 1, s[0:1]
	s_addc_u32 s11, s61, s11
	v_mul_lo_u32 v6, v0, s72
	s_lshl_b32 s3, s72, 8
	s_mov_b64 s[12:13], 0
	v_cmp_ne_u32_e64 s[0:1], 1, v1
	v_mov_b32_e32 v7, 0
	v_mov_b32_e32 v1, v0
	s_branch .LBB0_36
.LBB0_35:                               ;   in Loop: Header=BB0_36 Depth=1
	v_add_u32_e32 v1, 0x100, v1
	v_cmp_le_i32_e32 vcc, s73, v1
	s_or_b64 s[12:13], vcc, s[12:13]
	v_add_u32_e32 v6, s3, v6
	s_andn2_b64 exec, exec, s[12:13]
	s_cbranch_execz .LBB0_40
.LBB0_36:                               ; =>This Loop Header: Depth=1
                                        ;     Child Loop BB0_38 Depth 2
	s_and_b64 vcc, exec, s[0:1]
	s_cbranch_vccnz .LBB0_35
; %bb.37:                               ;   in Loop: Header=BB0_36 Depth=1
	v_mul_lo_u32 v3, v1, s72
	v_lshl_add_u64 v[8:9], v[6:7], 2, s[10:11]
	v_add_u32_e32 v5, s72, v3
	v_mov_b32_e32 v10, 0
	s_mov_b64 s[14:15], 0
.LBB0_38:                               ;   Parent Loop BB0_36 Depth=1
                                        ; =>  This Inner Loop Header: Depth=2
	global_load_dword v11, v[8:9], off
	v_add_u32_e32 v3, 1, v3
	v_cmp_ge_i32_e32 vcc, v3, v5
	s_or_b64 s[14:15], vcc, s[14:15]
	s_waitcnt vmcnt(0)
	v_add_f32_e32 v10, v10, v11
	global_store_dword v[8:9], v10, off
	v_lshl_add_u64 v[8:9], v[8:9], 0, 4
	s_andn2_b64 exec, exec, s[14:15]
	s_cbranch_execnz .LBB0_38
; %bb.39:                               ;   in Loop: Header=BB0_36 Depth=1
	s_or_b64 exec, exec, s[14:15]
	s_branch .LBB0_35
.LBB0_40:
	v_writelane_b32 v37, s86, 58
	s_nop 1
	v_writelane_b32 v37, s87, 59
	s_or_b64 exec, exec, s[8:9]
	s_lshl_b64 s[14:15], s[6:7], 2
	s_add_u32 s10, s60, s14
	s_mul_i32 s0, s99, s2
	s_addc_u32 s11, s61, s15
	s_ashr_i32 s1, s0, 31
	s_lshl_b64 s[86:87], s[0:1], 2
	s_add_u32 s34, s62, s86
	s_addc_u32 s35, s63, s87
	v_xad_u32 v14, v0, -1, s99
	s_barrier
	v_cmp_gt_i32_e64 s[0:1], s99, v0
	s_mov_b64 s[6:7], exec
	s_nop 0
	v_writelane_b32 v37, s0, 60
	s_nop 1
	v_writelane_b32 v37, s1, 61
	s_and_b64 s[0:1], s[6:7], s[0:1]
	s_mov_b64 exec, s[0:1]
	s_cbranch_execz .LBB0_48
; %bb.41:
	s_movk_i32 s0, 0xff
	s_add_i32 s16, s68, -1
	s_add_i32 s17, s21, -2
	v_cmp_lt_u32_e32 vcc, s0, v14
	s_mov_b64 s[0:1], -1
	v_mov_b32_e32 v6, v0
	s_and_saveexec_b64 s[8:9], vcc
	s_cbranch_execz .LBB0_45
; %bb.42:
	v_lshrrev_b32_e32 v1, 8, v14
	s_abs_i32 s18, s83
	v_add_u32_e32 v3, 1, v1
	v_cvt_f32_u32_e32 v1, s18
	s_sub_i32 s0, 0, s18
	v_and_b32_e32 v5, 0x1fffffe, v3
	s_mov_b32 s19, s16
	v_rcp_iflag_f32_e32 v1, v1
	s_mov_b32 s26, s17
	s_mov_b32 s27, s83
	;; [unrolled: 1-line block ×3, first 2 shown]
	v_mul_f32_e32 v1, 0x4f7ffffe, v1
	v_cvt_u32_f32_e32 v6, v1
	v_add_u32_e32 v1, 0x100, v0
	s_mov_b32 s3, s72
	s_ashr_i32 s44, s83, 31
	v_mul_lo_u32 v7, s0, v6
	v_mul_hi_u32 v7, v6, v7
	v_add_u32_e32 v10, v6, v7
	v_mov_b32_e32 v7, 0
	s_mov_b64 s[12:13], 0
	v_mov_b32_e32 v11, s83
	v_mov_b32_e32 v12, s83
	;; [unrolled: 1-line block ×3, first 2 shown]
	v_mov_b64_e32 v[8:9], v[0:1]
.LBB0_43:                               ; =>This Inner Loop Header: Depth=1
	v_add_u32_e32 v6, 1, v8
	v_not_b32_e32 v15, v8
	v_add_u32_e32 v1, 1, v9
	v_not_b32_e32 v16, v9
	v_max_i32_e32 v15, v6, v15
	v_max_i32_e32 v16, v1, v16
	v_mul_hi_u32 v19, v15, v10
	v_mul_hi_u32 v20, v16, v10
	v_mul_lo_u32 v21, v19, s18
	v_mul_lo_u32 v23, v20, s18
	v_sub_u32_e32 v15, v15, v21
	v_add_u32_e32 v22, 1, v19
	v_sub_u32_e32 v16, v16, v23
	v_subrev_u32_e32 v21, s18, v15
	v_cmp_le_u32_e32 vcc, s18, v15
	v_add_u32_e32 v24, 1, v20
	v_subrev_u32_e32 v23, s18, v16
	v_cndmask_b32_e32 v19, v19, v22, vcc
	v_cmp_le_u32_e64 s[0:1], s18, v16
	v_cndmask_b32_e32 v15, v15, v21, vcc
	v_ashrrev_i32_e32 v17, 31, v6
	v_cndmask_b32_e64 v20, v20, v24, s[0:1]
	v_cndmask_b32_e64 v16, v16, v23, s[0:1]
	v_add_u32_e32 v21, 1, v19
	v_cmp_le_u32_e32 vcc, s18, v15
	v_ashrrev_i32_e32 v18, 31, v1
	v_xor_b32_e32 v17, s44, v17
	v_add_u32_e32 v22, 1, v20
	v_cndmask_b32_e32 v15, v19, v21, vcc
	v_cmp_le_u32_e32 vcc, s18, v16
	v_xor_b32_e32 v18, s44, v18
	v_xor_b32_e32 v15, v15, v17
	v_cndmask_b32_e32 v16, v20, v22, vcc
	v_xor_b32_e32 v16, v16, v18
	v_sub_u32_e32 v15, v15, v17
	v_sub_u32_e32 v16, v16, v18
	v_mul_lo_u32 v17, v15, s83
	v_mul_lo_u32 v18, v16, s27
	v_sub_u32_e32 v6, v6, v17
	v_add_u32_e32 v15, s16, v15
	v_sub_u32_e32 v1, v1, v18
	v_cmp_eq_u32_e64 s[0:1], 0, v6
	v_add_u32_e32 v16, s19, v16
	v_cmp_eq_u32_e32 vcc, 0, v1
	v_cndmask_b32_e64 v6, v6, v12, s[0:1]
	v_subbrev_co_u32_e64 v15, s[0:1], 0, v15, s[0:1]
	v_cndmask_b32_e32 v1, v1, v11, vcc
	v_subbrev_co_u32_e32 v16, vcc, 0, v16, vcc
	v_mul_lo_u32 v15, v15, s33
	v_mul_lo_u32 v17, v16, s3
	v_add3_u32 v16, s17, v6, v15
	v_add3_u32 v18, s26, v1, v17
	v_ashrrev_i32_e32 v17, 31, v16
	v_ashrrev_i32_e32 v19, 31, v18
	v_lshl_add_u64 v[16:17], v[16:17], 2, s[10:11]
	v_lshl_add_u64 v[18:19], v[18:19], 2, s[10:11]
	global_load_dword v1, v[16:17], off
	global_load_dword v15, v[18:19], off
	v_add_u32_e32 v13, -2, v13
	v_mov_b32_e32 v6, v8
	v_cmp_eq_u32_e32 vcc, 0, v13
	v_add_u32_e32 v8, 0x200, v8
	v_lshl_add_u64 v[16:17], v[6:7], 2, s[34:35]
	v_mov_b32_e32 v6, v9
	v_add_u32_e32 v9, 0x200, v9
	s_or_b64 s[12:13], vcc, s[12:13]
	v_lshl_add_u64 v[18:19], v[6:7], 2, s[34:35]
	s_waitcnt vmcnt(1)
	global_store_dword v[16:17], v1, off
	s_waitcnt vmcnt(1)
	global_store_dword v[18:19], v15, off
	s_andn2_b64 exec, exec, s[12:13]
	s_cbranch_execnz .LBB0_43
; %bb.44:
	s_or_b64 exec, exec, s[12:13]
	v_cmp_ne_u32_e32 vcc, v3, v5
	v_lshl_add_u32 v6, v5, 8, v0
	s_orn2_b64 s[0:1], vcc, exec
.LBB0_45:
	s_or_b64 exec, exec, s[8:9]
	s_and_b64 exec, exec, s[0:1]
	s_cbranch_execz .LBB0_48
; %bb.46:
	s_abs_i32 s3, s83
	v_cvt_f32_u32_e32 v1, s3
	s_ashr_i32 s8, s83, 31
	s_sub_i32 s9, 0, s3
	s_add_u32 s12, s62, s86
	v_rcp_iflag_f32_e32 v3, v1
	v_mov_b32_e32 v7, 0
	s_addc_u32 s13, s63, s87
	s_mov_b64 s[0:1], 0
	v_mul_f32_e32 v3, 0x4f7ffffe, v3
	v_cvt_u32_f32_e32 v3, v3
	v_mov_b32_e32 v1, s83
	v_lshl_add_u64 v[8:9], v[6:7], 2, s[12:13]
	s_mov_b64 s[12:13], 0x400
	v_mul_lo_u32 v5, s9, v3
	v_mul_hi_u32 v5, v3, v5
	v_add_u32_e32 v3, v3, v5
.LBB0_47:                               ; =>This Inner Loop Header: Depth=1
	v_add_u32_e32 v5, 1, v6
	v_not_b32_e32 v7, v6
	v_max_i32_e32 v7, v5, v7
	v_mul_hi_u32 v11, v7, v3
	v_mul_lo_u32 v12, v11, s3
	v_sub_u32_e32 v7, v7, v12
	v_add_u32_e32 v13, 1, v11
	v_subrev_u32_e32 v12, s3, v7
	v_cmp_le_u32_e32 vcc, s3, v7
	v_ashrrev_i32_e32 v10, 31, v5
	v_xor_b32_e32 v10, s8, v10
	v_cndmask_b32_e32 v11, v11, v13, vcc
	v_cndmask_b32_e32 v7, v7, v12, vcc
	v_add_u32_e32 v12, 1, v11
	v_cmp_le_u32_e32 vcc, s3, v7
	v_add_u32_e32 v6, 0x100, v6
	s_nop 0
	v_cndmask_b32_e32 v7, v11, v12, vcc
	v_xor_b32_e32 v7, v7, v10
	v_sub_u32_e32 v7, v7, v10
	v_mul_lo_u32 v10, v7, s83
	v_sub_u32_e32 v5, v5, v10
	v_add_u32_e32 v7, s16, v7
	v_cmp_eq_u32_e32 vcc, 0, v5
	s_nop 1
	v_cndmask_b32_e32 v5, v5, v1, vcc
	v_subbrev_co_u32_e32 v7, vcc, 0, v7, vcc
	v_mul_lo_u32 v7, v7, s72
	v_add3_u32 v10, s17, v5, v7
	v_ashrrev_i32_e32 v11, 31, v10
	v_lshl_add_u64 v[10:11], v[10:11], 2, s[10:11]
	global_load_dword v5, v[10:11], off
	v_cmp_le_i32_e32 vcc, s99, v6
	s_or_b64 s[0:1], vcc, s[0:1]
	s_waitcnt vmcnt(0)
	global_store_dword v[8:9], v5, off
	v_lshl_add_u64 v[8:9], v[8:9], 0, s[12:13]
	s_andn2_b64 exec, exec, s[0:1]
	s_cbranch_execnz .LBB0_47
.LBB0_48:
	s_or_b64 exec, exec, s[6:7]
	s_mul_i32 s0, s49, s2
	s_ashr_i32 s1, s0, 31
	s_lshl_b64 s[12:13], s[0:1], 2
	s_add_u32 s92, s64, s12
	s_addc_u32 s93, s65, s13
	v_cmp_gt_i32_e64 s[8:9], s49, v0
	v_xad_u32 v13, v0, -1, s49
	s_barrier
	s_and_saveexec_b64 s[6:7], s[8:9]
	s_cbranch_execz .LBB0_56
; %bb.49:
	s_movk_i32 s0, 0xff
	s_add_i32 s26, s48, -1
	s_add_i32 s27, s20, -2
	v_cmp_lt_u32_e32 vcc, s0, v13
	s_mov_b64 s[0:1], -1
	v_mov_b32_e32 v6, v0
	s_and_saveexec_b64 s[16:17], vcc
	s_cbranch_execz .LBB0_53
; %bb.50:
	v_lshrrev_b32_e32 v1, 8, v13
	s_abs_i32 s44, s90
	v_add_u32_e32 v3, 1, v1
	v_cvt_f32_u32_e32 v1, s44
	s_sub_i32 s0, 0, s44
	v_and_b32_e32 v5, 0x1fffffe, v3
	s_mov_b32 s45, s26
	v_rcp_iflag_f32_e32 v1, v1
	s_mov_b32 s46, s27
	s_mov_b32 s33, s90
	;; [unrolled: 1-line block ×3, first 2 shown]
	v_mul_f32_e32 v1, 0x4f7ffffe, v1
	v_cvt_u32_f32_e32 v6, v1
	v_add_u32_e32 v1, 0x100, v0
	s_mov_b32 s3, s72
	s_ashr_i32 s50, s90, 31
	v_mul_lo_u32 v7, s0, v6
	v_mul_hi_u32 v7, v6, v7
	v_add_u32_e32 v10, v6, v7
	v_mov_b32_e32 v7, 0
	s_mov_b64 s[18:19], 0
	v_mov_b32_e32 v11, s90
	v_mov_b32_e32 v12, s90
	;; [unrolled: 1-line block ×3, first 2 shown]
	v_mov_b64_e32 v[8:9], v[0:1]
.LBB0_51:                               ; =>This Inner Loop Header: Depth=1
	v_add_u32_e32 v6, 1, v8
	v_not_b32_e32 v16, v8
	v_add_u32_e32 v1, 1, v9
	v_not_b32_e32 v17, v9
	v_max_i32_e32 v16, v6, v16
	v_max_i32_e32 v17, v1, v17
	v_mul_hi_u32 v20, v16, v10
	v_mul_hi_u32 v21, v17, v10
	v_mul_lo_u32 v22, v20, s44
	v_mul_lo_u32 v24, v21, s44
	v_sub_u32_e32 v16, v16, v22
	v_add_u32_e32 v23, 1, v20
	v_sub_u32_e32 v17, v17, v24
	v_subrev_u32_e32 v22, s44, v16
	v_cmp_le_u32_e32 vcc, s44, v16
	v_add_u32_e32 v25, 1, v21
	v_subrev_u32_e32 v24, s44, v17
	v_cndmask_b32_e32 v20, v20, v23, vcc
	v_cmp_le_u32_e64 s[0:1], s44, v17
	v_cndmask_b32_e32 v16, v16, v22, vcc
	v_ashrrev_i32_e32 v18, 31, v6
	v_cndmask_b32_e64 v21, v21, v25, s[0:1]
	v_cndmask_b32_e64 v17, v17, v24, s[0:1]
	v_add_u32_e32 v22, 1, v20
	v_cmp_le_u32_e32 vcc, s44, v16
	v_ashrrev_i32_e32 v19, 31, v1
	v_xor_b32_e32 v18, s50, v18
	v_add_u32_e32 v23, 1, v21
	v_cndmask_b32_e32 v16, v20, v22, vcc
	v_cmp_le_u32_e32 vcc, s44, v17
	v_xor_b32_e32 v19, s50, v19
	v_xor_b32_e32 v16, v16, v18
	v_cndmask_b32_e32 v17, v21, v23, vcc
	v_xor_b32_e32 v17, v17, v19
	v_sub_u32_e32 v16, v16, v18
	v_sub_u32_e32 v17, v17, v19
	v_mul_lo_u32 v18, v16, s90
	v_mul_lo_u32 v19, v17, s33
	v_sub_u32_e32 v6, v6, v18
	v_add_u32_e32 v16, s26, v16
	v_sub_u32_e32 v1, v1, v19
	v_cmp_eq_u32_e64 s[0:1], 0, v6
	v_add_u32_e32 v17, s45, v17
	v_cmp_eq_u32_e32 vcc, 0, v1
	v_cndmask_b32_e64 v6, v6, v12, s[0:1]
	v_subbrev_co_u32_e64 v16, s[0:1], 0, v16, s[0:1]
	v_cndmask_b32_e32 v1, v1, v11, vcc
	v_subbrev_co_u32_e32 v17, vcc, 0, v17, vcc
	v_mul_lo_u32 v16, v16, s47
	v_mul_lo_u32 v17, v17, s3
	v_add3_u32 v16, s27, v6, v16
	v_add3_u32 v18, s46, v1, v17
	v_ashrrev_i32_e32 v17, 31, v16
	v_ashrrev_i32_e32 v19, 31, v18
	v_lshl_add_u64 v[16:17], v[16:17], 2, s[10:11]
	v_lshl_add_u64 v[18:19], v[18:19], 2, s[10:11]
	global_load_dword v1, v[16:17], off
	global_load_dword v20, v[18:19], off
	v_add_u32_e32 v15, -2, v15
	v_mov_b32_e32 v6, v8
	v_cmp_eq_u32_e32 vcc, 0, v15
	v_add_u32_e32 v8, 0x200, v8
	v_lshl_add_u64 v[16:17], v[6:7], 2, s[92:93]
	v_mov_b32_e32 v6, v9
	v_add_u32_e32 v9, 0x200, v9
	s_or_b64 s[18:19], vcc, s[18:19]
	v_lshl_add_u64 v[18:19], v[6:7], 2, s[92:93]
	s_waitcnt vmcnt(1)
	global_store_dword v[16:17], v1, off
	s_waitcnt vmcnt(1)
	global_store_dword v[18:19], v20, off
	s_andn2_b64 exec, exec, s[18:19]
	s_cbranch_execnz .LBB0_51
; %bb.52:
	s_or_b64 exec, exec, s[18:19]
	v_cmp_ne_u32_e32 vcc, v3, v5
	v_lshl_add_u32 v6, v5, 8, v0
	s_orn2_b64 s[0:1], vcc, exec
.LBB0_53:
	s_or_b64 exec, exec, s[16:17]
	s_and_b64 exec, exec, s[0:1]
	s_cbranch_execz .LBB0_56
; %bb.54:
	s_abs_i32 s3, s90
	v_cvt_f32_u32_e32 v1, s3
	s_ashr_i32 s16, s90, 31
	s_sub_i32 s17, 0, s3
	s_add_u32 s18, s64, s12
	v_rcp_iflag_f32_e32 v3, v1
	v_mov_b32_e32 v7, 0
	s_addc_u32 s19, s65, s13
	s_mov_b64 s[0:1], 0
	v_mul_f32_e32 v3, 0x4f7ffffe, v3
	v_cvt_u32_f32_e32 v3, v3
	v_mov_b32_e32 v1, s90
	v_lshl_add_u64 v[8:9], v[6:7], 2, s[18:19]
	s_mov_b64 s[18:19], 0x400
	v_mul_lo_u32 v5, s17, v3
	v_mul_hi_u32 v5, v3, v5
	v_add_u32_e32 v3, v3, v5
.LBB0_55:                               ; =>This Inner Loop Header: Depth=1
	v_add_u32_e32 v5, 1, v6
	v_not_b32_e32 v7, v6
	v_max_i32_e32 v7, v5, v7
	v_mul_hi_u32 v11, v7, v3
	v_mul_lo_u32 v12, v11, s3
	v_sub_u32_e32 v7, v7, v12
	v_add_u32_e32 v15, 1, v11
	v_subrev_u32_e32 v12, s3, v7
	v_cmp_le_u32_e32 vcc, s3, v7
	v_ashrrev_i32_e32 v10, 31, v5
	v_xor_b32_e32 v10, s16, v10
	v_cndmask_b32_e32 v11, v11, v15, vcc
	v_cndmask_b32_e32 v7, v7, v12, vcc
	v_add_u32_e32 v12, 1, v11
	v_cmp_le_u32_e32 vcc, s3, v7
	v_add_u32_e32 v6, 0x100, v6
	s_nop 0
	v_cndmask_b32_e32 v7, v11, v12, vcc
	v_xor_b32_e32 v7, v7, v10
	v_sub_u32_e32 v7, v7, v10
	v_mul_lo_u32 v10, v7, s90
	v_sub_u32_e32 v5, v5, v10
	v_add_u32_e32 v7, s26, v7
	v_cmp_eq_u32_e32 vcc, 0, v5
	s_nop 1
	v_cndmask_b32_e32 v5, v5, v1, vcc
	v_subbrev_co_u32_e32 v7, vcc, 0, v7, vcc
	v_mul_lo_u32 v7, v7, s72
	v_add3_u32 v10, s27, v5, v7
	v_ashrrev_i32_e32 v11, 31, v10
	v_lshl_add_u64 v[10:11], v[10:11], 2, s[10:11]
	global_load_dword v5, v[10:11], off
	v_cmp_le_i32_e32 vcc, s49, v6
	s_or_b64 s[0:1], vcc, s[0:1]
	s_waitcnt vmcnt(0)
	global_store_dword v[8:9], v5, off
	v_lshl_add_u64 v[8:9], v[8:9], 0, s[18:19]
	s_andn2_b64 exec, exec, s[0:1]
	s_cbranch_execnz .LBB0_55
.LBB0_56:
	s_or_b64 exec, exec, s[6:7]
	s_barrier
	s_and_saveexec_b64 s[0:1], s[8:9]
	s_cbranch_execz .LBB0_64
; %bb.57:
	s_movk_i32 s3, 0x2ff
	v_cmp_lt_u32_e32 vcc, s3, v13
	s_mov_b64 s[16:17], -1
	v_mov_b32_e32 v6, v0
	s_and_saveexec_b64 s[6:7], vcc
	s_cbranch_execz .LBB0_61
; %bb.58:
	v_lshrrev_b32_e32 v1, 8, v13
	v_add_u32_e32 v3, 1, v1
	v_and_b32_e32 v5, 0x1fffffc, v3
	v_add_u32_e32 v1, 0x100, v0
	s_mov_b64 s[16:17], 0
	v_mov_b32_e32 v7, 0
	v_mov_b32_e32 v10, v5
	v_mov_b64_e32 v[8:9], v[0:1]
.LBB0_59:                               ; =>This Inner Loop Header: Depth=1
	v_add_u32_e32 v18, 0x200, v8
	v_mov_b32_e32 v6, v8
	v_mov_b32_e32 v19, v7
	v_add_u32_e32 v16, 0x200, v9
	v_mov_b32_e32 v17, v7
	v_lshlrev_b64 v[20:21], 2, v[6:7]
	v_mov_b32_e32 v6, v9
	v_lshlrev_b64 v[18:19], 2, v[18:19]
	v_lshlrev_b64 v[16:17], 2, v[16:17]
	v_lshl_add_u64 v[22:23], s[34:35], 0, v[20:21]
	v_lshlrev_b64 v[24:25], 2, v[6:7]
	v_lshl_add_u64 v[26:27], s[34:35], 0, v[18:19]
	v_lshl_add_u64 v[20:21], s[92:93], 0, v[20:21]
	;; [unrolled: 1-line block ×7, first 2 shown]
	global_load_dword v32, v[20:21], off
	global_load_dword v34, v[18:19], off
	;; [unrolled: 1-line block ×3, first 2 shown]
	s_nop 0
	global_load_dword v22, v[22:23], off
	s_nop 0
	global_load_dword v26, v[26:27], off
	;; [unrolled: 2-line block ×3, first 2 shown]
	global_load_dword v23, v[30:31], off
	global_load_dword v33, v[24:25], off
	v_add_u32_e32 v10, -4, v10
	v_cmp_eq_u32_e32 vcc, 0, v10
	v_add_u32_e32 v8, 0x400, v8
	v_add_u32_e32 v9, 0x400, v9
	s_or_b64 s[16:17], vcc, s[16:17]
	s_waitcnt vmcnt(2)
	v_pk_add_f32 v[26:27], v[26:27], v[34:35] neg_lo:[0,1] neg_hi:[0,1]
	s_waitcnt vmcnt(0)
	v_pk_add_f32 v[22:23], v[22:23], v[32:33] neg_lo:[0,1] neg_hi:[0,1]
	global_store_dword v[20:21], v22, off
	global_store_dword v[24:25], v23, off
	;; [unrolled: 1-line block ×4, first 2 shown]
	s_andn2_b64 exec, exec, s[16:17]
	s_cbranch_execnz .LBB0_59
; %bb.60:
	s_or_b64 exec, exec, s[16:17]
	v_cmp_ne_u32_e32 vcc, v3, v5
	v_lshl_or_b32 v6, v5, 8, v0
	s_orn2_b64 s[16:17], vcc, exec
.LBB0_61:
	s_or_b64 exec, exec, s[6:7]
	s_and_b64 exec, exec, s[16:17]
	s_cbranch_execz .LBB0_64
; %bb.62:
	v_mov_b32_e32 v7, 0
	s_add_u32 s6, s62, s86
	v_lshlrev_b64 v[10:11], 2, v[6:7]
	s_addc_u32 s7, s63, s87
	v_lshl_add_u64 v[8:9], s[6:7], 0, v[10:11]
	s_add_u32 s6, s64, s12
	s_addc_u32 s7, s65, s13
	v_lshl_add_u64 v[10:11], s[6:7], 0, v[10:11]
	s_mov_b64 s[6:7], 0
	s_mov_b64 s[16:17], 0x400
.LBB0_63:                               ; =>This Inner Loop Header: Depth=1
	global_load_dword v1, v[8:9], off
	global_load_dword v3, v[10:11], off
	v_add_u32_e32 v6, 0x100, v6
	v_cmp_le_i32_e32 vcc, s49, v6
	v_lshl_add_u64 v[8:9], v[8:9], 0, s[16:17]
	s_or_b64 s[6:7], vcc, s[6:7]
	s_waitcnt vmcnt(0)
	v_sub_f32_e32 v1, v1, v3
	global_store_dword v[10:11], v1, off
	v_lshl_add_u64 v[10:11], v[10:11], 0, s[16:17]
	s_andn2_b64 exec, exec, s[6:7]
	s_cbranch_execnz .LBB0_63
.LBB0_64:
	s_or_b64 exec, exec, s[0:1]
	s_barrier
	v_cmp_gt_i32_e64 s[0:1], s90, v0
	s_mov_b64 s[6:7], exec
	s_nop 0
	v_writelane_b32 v37, s0, 62
                                        ; implicit-def: $vgpr36 : SGPR spill to VGPR lane
	v_writelane_b32 v36, s91, 0
	s_nop 0
	v_writelane_b32 v37, s1, 63
	s_and_b64 s[0:1], s[6:7], s[0:1]
	s_mov_b64 exec, s[0:1]
	s_cbranch_execz .LBB0_71
; %bb.65:
	s_cmp_gt_i32 s49, 0
	s_cselect_b64 s[0:1], -1, 0
	s_add_u32 s16, s64, s12
	v_mov_b32_e32 v3, 0
	s_addc_u32 s17, s65, s13
	s_ashr_i32 s91, s90, 31
	v_cndmask_b32_e64 v1, 0, 1, s[0:1]
	v_lshl_add_u64 v[6:7], s[16:17], 0, v[2:3]
	s_lshl_b64 s[16:17], s[90:91], 2
	s_mov_b64 s[18:19], 0
	v_cmp_ne_u32_e64 s[0:1], 1, v1
	v_mov_b32_e32 v1, v0
	s_branch .LBB0_67
.LBB0_66:                               ;   in Loop: Header=BB0_67 Depth=1
	v_add_u32_e32 v1, 0x100, v1
	v_cmp_le_i32_e32 vcc, s90, v1
	s_mov_b64 s[26:27], 0x400
	s_or_b64 s[18:19], vcc, s[18:19]
	v_lshl_add_u64 v[6:7], v[6:7], 0, s[26:27]
	s_andn2_b64 exec, exec, s[18:19]
	s_cbranch_execz .LBB0_71
.LBB0_67:                               ; =>This Loop Header: Depth=1
                                        ;     Child Loop BB0_69 Depth 2
	s_and_b64 vcc, exec, s[0:1]
	s_cbranch_vccnz .LBB0_66
; %bb.68:                               ;   in Loop: Header=BB0_67 Depth=1
	v_add_u32_e32 v3, s49, v1
	v_mov_b32_e32 v5, 0
	s_mov_b64 s[26:27], 0
	v_mov_b64_e32 v[8:9], v[6:7]
	v_mov_b32_e32 v10, v1
.LBB0_69:                               ;   Parent Loop BB0_67 Depth=1
                                        ; =>  This Inner Loop Header: Depth=2
	global_load_dword v11, v[8:9], off
	v_add_u32_e32 v10, s90, v10
	v_cmp_ge_i32_e32 vcc, v10, v3
	s_or_b64 s[26:27], vcc, s[26:27]
	s_waitcnt vmcnt(0)
	v_add_f32_e32 v5, v5, v11
	global_store_dword v[8:9], v5, off
	v_lshl_add_u64 v[8:9], v[8:9], 0, s[16:17]
	s_andn2_b64 exec, exec, s[26:27]
	s_cbranch_execnz .LBB0_69
; %bb.70:                               ;   in Loop: Header=BB0_67 Depth=1
	s_or_b64 exec, exec, s[26:27]
	s_branch .LBB0_66
.LBB0_71:
	v_writelane_b32 v36, s68, 1
	v_writelane_b32 v36, s48, 2
	;; [unrolled: 1-line block ×3, first 2 shown]
	s_or_b64 exec, exec, s[6:7]
	s_mul_i32 s0, s75, s2
	s_ashr_i32 s1, s0, 31
	s_lshl_b64 s[68:69], s[0:1], 2
	s_add_u32 s94, s66, s68
	s_addc_u32 s95, s67, s69
	v_xad_u32 v15, v0, -1, s75
	s_barrier
	v_cmp_gt_i32_e64 s[0:1], s75, v0
	s_mov_b64 s[6:7], exec
	s_nop 0
	v_writelane_b32 v36, s0, 4
	s_nop 1
	v_writelane_b32 v36, s1, 5
	s_and_b64 s[0:1], s[6:7], s[0:1]
	s_mov_b64 exec, s[0:1]
	s_cbranch_execz .LBB0_79
; %bb.72:
	v_readlane_b32 s0, v37, 50
	s_add_i32 s26, s0, -1
	v_readlane_b32 s0, v37, 49
	s_add_i32 s27, s0, -2
	s_movk_i32 s0, 0xff
	v_cmp_lt_u32_e32 vcc, s0, v15
	s_mov_b64 s[0:1], -1
	v_mov_b32_e32 v6, v0
	s_and_saveexec_b64 s[16:17], vcc
	s_cbranch_execz .LBB0_76
; %bb.73:
	s_abs_i32 s44, s39
	v_cvt_f32_u32_e32 v6, s44
	v_lshrrev_b32_e32 v1, 8, v15
	v_add_u32_e32 v3, 1, v1
	s_sub_i32 s0, 0, s44
	v_rcp_iflag_f32_e32 v1, v6
	v_and_b32_e32 v5, 0x1fffffe, v3
	s_mov_b32 s45, s26
	s_mov_b32 s46, s27
	v_mul_f32_e32 v1, 0x4f7ffffe, v1
	v_cvt_u32_f32_e32 v6, v1
	v_add_u32_e32 v1, 0x100, v0
	s_mov_b32 s33, s39
	s_mov_b32 s3, s90
	v_mul_lo_u32 v7, s0, v6
	v_mul_hi_u32 v7, v6, v7
	s_ashr_i32 s47, s39, 31
	v_add_u32_e32 v10, v6, v7
	v_mov_b32_e32 v7, 0
	s_mov_b64 s[18:19], 0
	v_mov_b32_e32 v11, s39
	v_mov_b32_e32 v12, s39
	;; [unrolled: 1-line block ×3, first 2 shown]
	v_mov_b64_e32 v[8:9], v[0:1]
.LBB0_74:                               ; =>This Inner Loop Header: Depth=1
	v_add_u32_e32 v6, 1, v8
	v_not_b32_e32 v17, v8
	v_add_u32_e32 v1, 1, v9
	v_not_b32_e32 v18, v9
	v_max_i32_e32 v17, v6, v17
	v_max_i32_e32 v18, v1, v18
	v_mul_hi_u32 v21, v17, v10
	v_mul_hi_u32 v22, v18, v10
	v_mul_lo_u32 v23, v21, s44
	v_mul_lo_u32 v25, v22, s44
	v_sub_u32_e32 v17, v17, v23
	v_add_u32_e32 v24, 1, v21
	v_sub_u32_e32 v18, v18, v25
	v_subrev_u32_e32 v23, s44, v17
	v_cmp_le_u32_e32 vcc, s44, v17
	v_add_u32_e32 v26, 1, v22
	v_subrev_u32_e32 v25, s44, v18
	v_cndmask_b32_e32 v21, v21, v24, vcc
	v_cmp_le_u32_e64 s[0:1], s44, v18
	v_cndmask_b32_e32 v17, v17, v23, vcc
	v_ashrrev_i32_e32 v19, 31, v6
	v_cndmask_b32_e64 v22, v22, v26, s[0:1]
	v_cndmask_b32_e64 v18, v18, v25, s[0:1]
	v_add_u32_e32 v23, 1, v21
	v_cmp_le_u32_e32 vcc, s44, v17
	v_ashrrev_i32_e32 v20, 31, v1
	v_xor_b32_e32 v19, s47, v19
	v_add_u32_e32 v24, 1, v22
	v_cndmask_b32_e32 v17, v21, v23, vcc
	v_cmp_le_u32_e32 vcc, s44, v18
	v_xor_b32_e32 v20, s47, v20
	v_xor_b32_e32 v17, v17, v19
	v_cndmask_b32_e32 v18, v22, v24, vcc
	v_xor_b32_e32 v18, v18, v20
	v_sub_u32_e32 v17, v17, v19
	v_sub_u32_e32 v18, v18, v20
	v_mul_lo_u32 v19, v17, s39
	v_mul_lo_u32 v20, v18, s33
	v_sub_u32_e32 v6, v6, v19
	v_add_u32_e32 v17, s26, v17
	v_sub_u32_e32 v1, v1, v20
	v_cmp_eq_u32_e64 s[0:1], 0, v6
	v_add_u32_e32 v18, s45, v18
	v_cmp_eq_u32_e32 vcc, 0, v1
	v_cndmask_b32_e64 v6, v6, v12, s[0:1]
	v_subbrev_co_u32_e64 v17, s[0:1], 0, v17, s[0:1]
	v_cndmask_b32_e32 v1, v1, v11, vcc
	v_subbrev_co_u32_e32 v18, vcc, 0, v18, vcc
	v_mul_lo_u32 v17, v17, s90
	v_mul_lo_u32 v19, v18, s3
	v_add3_u32 v18, s27, v6, v17
	v_add3_u32 v20, s46, v1, v19
	v_ashrrev_i32_e32 v19, 31, v18
	v_ashrrev_i32_e32 v21, 31, v20
	v_lshl_add_u64 v[18:19], v[18:19], 2, s[92:93]
	v_lshl_add_u64 v[20:21], v[20:21], 2, s[92:93]
	global_load_dword v1, v[18:19], off
	global_load_dword v17, v[20:21], off
	v_add_u32_e32 v16, -2, v16
	v_mov_b32_e32 v6, v8
	v_cmp_eq_u32_e32 vcc, 0, v16
	v_add_u32_e32 v8, 0x200, v8
	v_lshl_add_u64 v[18:19], v[6:7], 2, s[94:95]
	v_mov_b32_e32 v6, v9
	v_add_u32_e32 v9, 0x200, v9
	s_or_b64 s[18:19], vcc, s[18:19]
	v_lshl_add_u64 v[20:21], v[6:7], 2, s[94:95]
	s_waitcnt vmcnt(1)
	global_store_dword v[18:19], v1, off
	s_waitcnt vmcnt(1)
	global_store_dword v[20:21], v17, off
	s_andn2_b64 exec, exec, s[18:19]
	s_cbranch_execnz .LBB0_74
; %bb.75:
	s_or_b64 exec, exec, s[18:19]
	v_cmp_ne_u32_e32 vcc, v3, v5
	v_lshl_add_u32 v6, v5, 8, v0
	s_orn2_b64 s[0:1], vcc, exec
.LBB0_76:
	s_or_b64 exec, exec, s[16:17]
	s_and_b64 exec, exec, s[0:1]
	s_cbranch_execz .LBB0_79
; %bb.77:
	s_abs_i32 s3, s39
	v_cvt_f32_u32_e32 v1, s3
	s_ashr_i32 s16, s39, 31
	s_sub_i32 s17, 0, s3
	s_add_u32 s18, s66, s68
	v_rcp_iflag_f32_e32 v3, v1
	v_mov_b32_e32 v7, 0
	s_addc_u32 s19, s67, s69
	s_mov_b64 s[0:1], 0
	v_mul_f32_e32 v3, 0x4f7ffffe, v3
	v_cvt_u32_f32_e32 v3, v3
	v_mov_b32_e32 v1, s39
	v_lshl_add_u64 v[8:9], v[6:7], 2, s[18:19]
	s_mov_b64 s[18:19], 0x400
	v_mul_lo_u32 v5, s17, v3
	v_mul_hi_u32 v5, v3, v5
	v_add_u32_e32 v3, v3, v5
.LBB0_78:                               ; =>This Inner Loop Header: Depth=1
	v_add_u32_e32 v5, 1, v6
	v_not_b32_e32 v7, v6
	v_max_i32_e32 v7, v5, v7
	v_mul_hi_u32 v11, v7, v3
	v_mul_lo_u32 v12, v11, s3
	v_sub_u32_e32 v7, v7, v12
	v_add_u32_e32 v16, 1, v11
	v_subrev_u32_e32 v12, s3, v7
	v_cmp_le_u32_e32 vcc, s3, v7
	v_ashrrev_i32_e32 v10, 31, v5
	v_xor_b32_e32 v10, s16, v10
	v_cndmask_b32_e32 v11, v11, v16, vcc
	v_cndmask_b32_e32 v7, v7, v12, vcc
	v_add_u32_e32 v12, 1, v11
	v_cmp_le_u32_e32 vcc, s3, v7
	v_add_u32_e32 v6, 0x100, v6
	s_nop 0
	v_cndmask_b32_e32 v7, v11, v12, vcc
	v_xor_b32_e32 v7, v7, v10
	v_sub_u32_e32 v7, v7, v10
	v_mul_lo_u32 v10, v7, s39
	v_sub_u32_e32 v5, v5, v10
	v_add_u32_e32 v7, s26, v7
	v_cmp_eq_u32_e32 vcc, 0, v5
	s_nop 1
	v_cndmask_b32_e32 v5, v5, v1, vcc
	v_subbrev_co_u32_e32 v7, vcc, 0, v7, vcc
	v_mul_lo_u32 v7, v7, s90
	v_add3_u32 v10, s27, v5, v7
	v_ashrrev_i32_e32 v11, 31, v10
	v_lshl_add_u64 v[10:11], v[10:11], 2, s[92:93]
	global_load_dword v5, v[10:11], off
	v_cmp_le_i32_e32 vcc, s75, v6
	s_or_b64 s[0:1], vcc, s[0:1]
	s_waitcnt vmcnt(0)
	global_store_dword v[8:9], v5, off
	v_lshl_add_u64 v[8:9], v[8:9], 0, s[18:19]
	s_andn2_b64 exec, exec, s[0:1]
	s_cbranch_execnz .LBB0_78
.LBB0_79:
	s_or_b64 exec, exec, s[6:7]
	s_mul_i32 s0, s43, s2
	s_ashr_i32 s1, s0, 31
	s_lshl_b64 s[0:1], s[0:1], 2
	s_add_u32 s26, s52, s0
	v_writelane_b32 v36, s0, 6
	s_addc_u32 s27, s53, s1
	v_cmp_gt_i32_e64 s[6:7], s43, v0
	v_xad_u32 v12, v0, -1, s43
	v_writelane_b32 v36, s1, 7
	s_barrier
	s_and_saveexec_b64 s[16:17], s[6:7]
	s_cbranch_execz .LBB0_87
; %bb.80:
	v_readlane_b32 s0, v37, 52
	s_add_i32 s46, s0, -1
	v_readlane_b32 s0, v37, 51
	s_add_i32 s47, s0, -2
	s_movk_i32 s0, 0xff
	v_cmp_lt_u32_e32 vcc, s0, v12
	s_mov_b64 s[0:1], -1
	v_mov_b32_e32 v6, v0
	s_and_saveexec_b64 s[18:19], vcc
	s_cbranch_execz .LBB0_84
; %bb.81:
	s_abs_i32 s91, s79
	v_cvt_f32_u32_e32 v6, s91
	v_lshrrev_b32_e32 v1, 8, v12
	v_add_u32_e32 v3, 1, v1
	s_sub_i32 s0, 0, s91
	v_rcp_iflag_f32_e32 v1, v6
	v_and_b32_e32 v5, 0x1fffffe, v3
	s_mov_b32 s20, s51
	s_mov_b32 s51, s46
	v_mul_f32_e32 v1, 0x4f7ffffe, v1
	v_cvt_u32_f32_e32 v6, v1
	v_add_u32_e32 v1, 0x100, v0
	s_mov_b32 s33, s47
	s_mov_b32 s3, s79
	v_mul_lo_u32 v7, s0, v6
	v_mul_hi_u32 v7, v6, v7
	s_mov_b32 s50, s90
	s_ashr_i32 s48, s79, 31
	v_add_u32_e32 v10, v6, v7
	v_mov_b32_e32 v7, 0
	s_mov_b64 s[44:45], 0
	v_mov_b32_e32 v11, s79
	v_mov_b32_e32 v16, s79
	;; [unrolled: 1-line block ×3, first 2 shown]
	v_mov_b64_e32 v[8:9], v[0:1]
.LBB0_82:                               ; =>This Inner Loop Header: Depth=1
	v_add_u32_e32 v6, 1, v8
	v_not_b32_e32 v18, v8
	v_add_u32_e32 v1, 1, v9
	v_not_b32_e32 v19, v9
	v_max_i32_e32 v18, v6, v18
	v_max_i32_e32 v19, v1, v19
	v_mul_hi_u32 v22, v18, v10
	v_mul_hi_u32 v23, v19, v10
	v_mul_lo_u32 v24, v22, s91
	v_mul_lo_u32 v26, v23, s91
	v_sub_u32_e32 v18, v18, v24
	v_add_u32_e32 v25, 1, v22
	v_sub_u32_e32 v19, v19, v26
	v_subrev_u32_e32 v24, s91, v18
	v_cmp_le_u32_e32 vcc, s91, v18
	v_add_u32_e32 v27, 1, v23
	v_subrev_u32_e32 v26, s91, v19
	v_cndmask_b32_e32 v22, v22, v25, vcc
	v_cmp_le_u32_e64 s[0:1], s91, v19
	v_cndmask_b32_e32 v18, v18, v24, vcc
	v_ashrrev_i32_e32 v20, 31, v6
	v_cndmask_b32_e64 v23, v23, v27, s[0:1]
	v_cndmask_b32_e64 v19, v19, v26, s[0:1]
	v_add_u32_e32 v24, 1, v22
	v_cmp_le_u32_e32 vcc, s91, v18
	v_ashrrev_i32_e32 v21, 31, v1
	v_xor_b32_e32 v20, s48, v20
	v_add_u32_e32 v25, 1, v23
	v_cndmask_b32_e32 v18, v22, v24, vcc
	v_cmp_le_u32_e32 vcc, s91, v19
	v_xor_b32_e32 v21, s48, v21
	v_xor_b32_e32 v18, v18, v20
	v_cndmask_b32_e32 v19, v23, v25, vcc
	v_xor_b32_e32 v19, v19, v21
	v_sub_u32_e32 v18, v18, v20
	v_sub_u32_e32 v19, v19, v21
	v_mul_lo_u32 v20, v18, s79
	v_mul_lo_u32 v21, v19, s3
	v_sub_u32_e32 v6, v6, v20
	v_add_u32_e32 v18, s46, v18
	v_sub_u32_e32 v1, v1, v21
	v_cmp_eq_u32_e64 s[0:1], 0, v6
	v_add_u32_e32 v19, s51, v19
	v_cmp_eq_u32_e32 vcc, 0, v1
	v_cndmask_b32_e64 v6, v6, v16, s[0:1]
	v_subbrev_co_u32_e64 v18, s[0:1], 0, v18, s[0:1]
	v_cndmask_b32_e32 v1, v1, v11, vcc
	v_subbrev_co_u32_e32 v19, vcc, 0, v19, vcc
	v_mul_lo_u32 v18, v18, s90
	v_mul_lo_u32 v19, v19, s50
	v_add3_u32 v18, s47, v6, v18
	v_add3_u32 v20, s33, v1, v19
	v_ashrrev_i32_e32 v19, 31, v18
	v_ashrrev_i32_e32 v21, 31, v20
	v_lshl_add_u64 v[18:19], v[18:19], 2, s[92:93]
	v_lshl_add_u64 v[20:21], v[20:21], 2, s[92:93]
	global_load_dword v1, v[18:19], off
	global_load_dword v22, v[20:21], off
	v_add_u32_e32 v17, -2, v17
	v_mov_b32_e32 v6, v8
	v_cmp_eq_u32_e32 vcc, 0, v17
	v_add_u32_e32 v8, 0x200, v8
	v_lshl_add_u64 v[18:19], v[6:7], 2, s[26:27]
	v_mov_b32_e32 v6, v9
	v_add_u32_e32 v9, 0x200, v9
	s_or_b64 s[44:45], vcc, s[44:45]
	v_lshl_add_u64 v[20:21], v[6:7], 2, s[26:27]
	s_waitcnt vmcnt(1)
	global_store_dword v[18:19], v1, off
	s_waitcnt vmcnt(1)
	global_store_dword v[20:21], v22, off
	s_andn2_b64 exec, exec, s[44:45]
	s_cbranch_execnz .LBB0_82
; %bb.83:
	s_or_b64 exec, exec, s[44:45]
	v_cmp_ne_u32_e32 vcc, v3, v5
	v_lshl_add_u32 v6, v5, 8, v0
	s_orn2_b64 s[0:1], vcc, exec
	s_mov_b32 s51, s20
.LBB0_84:
	s_or_b64 exec, exec, s[18:19]
	s_and_b64 exec, exec, s[0:1]
	s_cbranch_execz .LBB0_87
; %bb.85:
	s_abs_i32 s3, s79
	v_cvt_f32_u32_e32 v1, s3
	s_ashr_i32 s18, s79, 31
	s_sub_i32 s19, 0, s3
	v_readlane_b32 s44, v36, 6
	v_rcp_iflag_f32_e32 v3, v1
	v_readlane_b32 s45, v36, 7
	s_add_u32 s44, s52, s44
	v_mov_b32_e32 v7, 0
	v_mul_f32_e32 v3, 0x4f7ffffe, v3
	v_cvt_u32_f32_e32 v3, v3
	s_addc_u32 s45, s53, s45
	s_mov_b64 s[0:1], 0
	v_mov_b32_e32 v1, s79
	v_mul_lo_u32 v5, s19, v3
	v_mul_hi_u32 v5, v3, v5
	v_lshl_add_u64 v[8:9], v[6:7], 2, s[44:45]
	v_add_u32_e32 v3, v3, v5
	s_mov_b64 s[44:45], 0x400
.LBB0_86:                               ; =>This Inner Loop Header: Depth=1
	v_add_u32_e32 v5, 1, v6
	v_not_b32_e32 v7, v6
	v_max_i32_e32 v7, v5, v7
	v_mul_hi_u32 v11, v7, v3
	v_mul_lo_u32 v16, v11, s3
	v_sub_u32_e32 v7, v7, v16
	v_add_u32_e32 v17, 1, v11
	v_subrev_u32_e32 v16, s3, v7
	v_cmp_le_u32_e32 vcc, s3, v7
	v_ashrrev_i32_e32 v10, 31, v5
	v_xor_b32_e32 v10, s18, v10
	v_cndmask_b32_e32 v11, v11, v17, vcc
	v_cndmask_b32_e32 v7, v7, v16, vcc
	v_add_u32_e32 v16, 1, v11
	v_cmp_le_u32_e32 vcc, s3, v7
	v_add_u32_e32 v6, 0x100, v6
	s_nop 0
	v_cndmask_b32_e32 v7, v11, v16, vcc
	v_xor_b32_e32 v7, v7, v10
	v_sub_u32_e32 v7, v7, v10
	v_mul_lo_u32 v10, v7, s79
	v_sub_u32_e32 v5, v5, v10
	v_add_u32_e32 v7, s46, v7
	v_cmp_eq_u32_e32 vcc, 0, v5
	s_nop 1
	v_cndmask_b32_e32 v5, v5, v1, vcc
	v_subbrev_co_u32_e32 v7, vcc, 0, v7, vcc
	v_mul_lo_u32 v7, v7, s90
	v_add3_u32 v10, s47, v5, v7
	v_ashrrev_i32_e32 v11, 31, v10
	v_lshl_add_u64 v[10:11], v[10:11], 2, s[92:93]
	global_load_dword v5, v[10:11], off
	v_cmp_le_i32_e32 vcc, s43, v6
	s_or_b64 s[0:1], vcc, s[0:1]
	s_waitcnt vmcnt(0)
	global_store_dword v[8:9], v5, off
	v_lshl_add_u64 v[8:9], v[8:9], 0, s[44:45]
	s_andn2_b64 exec, exec, s[0:1]
	s_cbranch_execnz .LBB0_86
.LBB0_87:
	s_or_b64 exec, exec, s[16:17]
	s_barrier
	s_and_saveexec_b64 s[0:1], s[6:7]
	s_cbranch_execz .LBB0_95
; %bb.88:
	s_movk_i32 s3, 0x2ff
	v_cmp_lt_u32_e32 vcc, s3, v12
	s_mov_b64 s[18:19], -1
	v_mov_b32_e32 v6, v0
	s_and_saveexec_b64 s[16:17], vcc
	s_cbranch_execz .LBB0_92
; %bb.89:
	v_lshrrev_b32_e32 v1, 8, v12
	v_add_u32_e32 v3, 1, v1
	v_and_b32_e32 v5, 0x1fffffc, v3
	v_add_u32_e32 v1, 0x100, v0
	s_mov_b64 s[18:19], 0
	v_mov_b32_e32 v7, 0
	v_mov_b32_e32 v10, v5
	v_mov_b64_e32 v[8:9], v[0:1]
.LBB0_90:                               ; =>This Inner Loop Header: Depth=1
	v_add_u32_e32 v18, 0x200, v8
	v_mov_b32_e32 v6, v8
	v_mov_b32_e32 v19, v7
	v_add_u32_e32 v16, 0x200, v9
	v_mov_b32_e32 v17, v7
	v_lshlrev_b64 v[20:21], 2, v[6:7]
	v_mov_b32_e32 v6, v9
	v_lshlrev_b64 v[18:19], 2, v[18:19]
	v_lshlrev_b64 v[16:17], 2, v[16:17]
	v_lshl_add_u64 v[22:23], s[94:95], 0, v[20:21]
	v_lshlrev_b64 v[24:25], 2, v[6:7]
	v_lshl_add_u64 v[26:27], s[94:95], 0, v[18:19]
	v_lshl_add_u64 v[20:21], s[26:27], 0, v[20:21]
	;; [unrolled: 1-line block ×7, first 2 shown]
	global_load_dword v32, v[20:21], off
	global_load_dword v34, v[18:19], off
	;; [unrolled: 1-line block ×3, first 2 shown]
	s_nop 0
	global_load_dword v22, v[22:23], off
	s_nop 0
	global_load_dword v26, v[26:27], off
	s_nop 0
	global_load_dword v27, v[28:29], off
	global_load_dword v23, v[30:31], off
	global_load_dword v33, v[24:25], off
	v_add_u32_e32 v10, -4, v10
	v_cmp_eq_u32_e32 vcc, 0, v10
	v_add_u32_e32 v8, 0x400, v8
	v_add_u32_e32 v9, 0x400, v9
	s_or_b64 s[18:19], vcc, s[18:19]
	s_waitcnt vmcnt(2)
	v_pk_add_f32 v[26:27], v[26:27], v[34:35] neg_lo:[0,1] neg_hi:[0,1]
	s_waitcnt vmcnt(0)
	v_pk_add_f32 v[22:23], v[22:23], v[32:33] neg_lo:[0,1] neg_hi:[0,1]
	global_store_dword v[20:21], v22, off
	global_store_dword v[24:25], v23, off
	;; [unrolled: 1-line block ×4, first 2 shown]
	s_andn2_b64 exec, exec, s[18:19]
	s_cbranch_execnz .LBB0_90
; %bb.91:
	s_or_b64 exec, exec, s[18:19]
	v_cmp_ne_u32_e32 vcc, v3, v5
	v_lshl_or_b32 v6, v5, 8, v0
	s_orn2_b64 s[18:19], vcc, exec
.LBB0_92:
	s_or_b64 exec, exec, s[16:17]
	s_and_b64 exec, exec, s[18:19]
	s_cbranch_execz .LBB0_95
; %bb.93:
	v_mov_b32_e32 v7, 0
	s_add_u32 s16, s66, s68
	v_lshlrev_b64 v[10:11], 2, v[6:7]
	s_addc_u32 s17, s67, s69
	v_lshl_add_u64 v[8:9], s[16:17], 0, v[10:11]
	v_readlane_b32 s16, v36, 6
	v_readlane_b32 s17, v36, 7
	s_add_u32 s16, s52, s16
	s_addc_u32 s17, s53, s17
	v_lshl_add_u64 v[10:11], s[16:17], 0, v[10:11]
	s_mov_b64 s[16:17], 0
	s_mov_b64 s[18:19], 0x400
.LBB0_94:                               ; =>This Inner Loop Header: Depth=1
	global_load_dword v1, v[8:9], off
	global_load_dword v3, v[10:11], off
	v_add_u32_e32 v6, 0x100, v6
	v_cmp_le_i32_e32 vcc, s43, v6
	v_lshl_add_u64 v[8:9], v[8:9], 0, s[18:19]
	s_or_b64 s[16:17], vcc, s[16:17]
	s_waitcnt vmcnt(0)
	v_sub_f32_e32 v1, v1, v3
	global_store_dword v[10:11], v1, off
	v_lshl_add_u64 v[10:11], v[10:11], 0, s[18:19]
	s_andn2_b64 exec, exec, s[16:17]
	s_cbranch_execnz .LBB0_94
.LBB0_95:
	s_mov_b32 s91, s51
	s_or_b64 exec, exec, s[0:1]
	s_mul_i32 s0, s98, s2
	s_ashr_i32 s1, s0, 31
	s_lshl_b64 s[18:19], s[0:1], 2
	s_add_u32 s16, s54, s18
	s_addc_u32 s17, s55, s19
	v_cmp_gt_i32_e32 vcc, s98, v0
	s_barrier
	s_and_saveexec_b64 s[0:1], vcc
	s_cbranch_execz .LBB0_103
; %bb.96:
	v_xad_u32 v1, v0, -1, s98
	s_movk_i32 s3, 0xff
	v_cmp_lt_u32_e32 vcc, s3, v1
	s_mov_b64 s[46:47], -1
	v_mov_b32_e32 v6, v0
	s_and_saveexec_b64 s[44:45], vcc
	s_cbranch_execz .LBB0_100
; %bb.97:
	v_lshrrev_b32_e32 v1, 8, v1
	v_add_u32_e32 v3, 1, v1
	v_and_b32_e32 v5, 0x1fffffe, v3
	v_add_u32_e32 v1, 0x100, v0
	s_mov_b64 s[46:47], 0
	v_mov_b32_e32 v7, 0
	v_mov_b32_e32 v10, v5
	v_mov_b64_e32 v[8:9], v[0:1]
.LBB0_98:                               ; =>This Inner Loop Header: Depth=1
	v_mov_b32_e32 v6, v8
	v_lshlrev_b64 v[16:17], 2, v[6:7]
	v_mov_b32_e32 v6, v9
	v_lshl_add_u64 v[18:19], s[84:85], 0, v[16:17]
	v_lshlrev_b64 v[20:21], 2, v[6:7]
	v_lshl_add_u64 v[22:23], s[84:85], 0, v[20:21]
	global_load_dword v18, v[18:19], off
	s_nop 0
	global_load_dword v19, v[22:23], off
	v_add_u32_e32 v10, -2, v10
	v_cmp_eq_u32_e32 vcc, 0, v10
	v_add_u32_e32 v8, 0x200, v8
	v_add_u32_e32 v9, 0x200, v9
	v_lshl_add_u64 v[16:17], s[16:17], 0, v[16:17]
	s_or_b64 s[46:47], vcc, s[46:47]
	v_lshl_add_u64 v[20:21], s[16:17], 0, v[20:21]
	s_waitcnt vmcnt(0)
	v_pk_mul_f32 v[18:19], v[18:19], v[18:19]
	global_store_dword v[16:17], v18, off
	global_store_dword v[20:21], v19, off
	s_andn2_b64 exec, exec, s[46:47]
	s_cbranch_execnz .LBB0_98
; %bb.99:
	s_or_b64 exec, exec, s[46:47]
	v_cmp_ne_u32_e32 vcc, v3, v5
	v_lshl_add_u32 v6, v5, 8, v0
	s_orn2_b64 s[46:47], vcc, exec
.LBB0_100:
	s_or_b64 exec, exec, s[44:45]
	s_and_b64 exec, exec, s[46:47]
	s_cbranch_execz .LBB0_103
; %bb.101:
	v_readlane_b32 s44, v37, 8
	v_readlane_b32 s46, v37, 10
	;; [unrolled: 1-line block ×6, first 2 shown]
	s_add_u32 s44, s44, s46
	s_addc_u32 s45, s45, s47
	v_mov_b32_e32 v7, 0
	s_add_u32 s18, s54, s18
	v_lshlrev_b64 v[10:11], 2, v[6:7]
	s_addc_u32 s19, s55, s19
	v_lshl_add_u64 v[8:9], s[44:45], 0, v[10:11]
	v_lshl_add_u64 v[10:11], s[18:19], 0, v[10:11]
	s_mov_b64 s[18:19], 0
	s_mov_b64 s[44:45], 0x400
.LBB0_102:                              ; =>This Inner Loop Header: Depth=1
	global_load_dword v1, v[8:9], off
	v_add_u32_e32 v6, 0x100, v6
	v_cmp_le_i32_e32 vcc, s98, v6
	v_lshl_add_u64 v[8:9], v[8:9], 0, s[44:45]
	s_or_b64 s[18:19], vcc, s[18:19]
	s_waitcnt vmcnt(0)
	v_mul_f32_e32 v1, v1, v1
	global_store_dword v[10:11], v1, off
	v_lshl_add_u64 v[10:11], v[10:11], 0, s[44:45]
	s_andn2_b64 exec, exec, s[18:19]
	s_cbranch_execnz .LBB0_102
.LBB0_103:
	s_or_b64 exec, exec, s[0:1]
	s_barrier
	s_mov_b64 s[18:19], exec
	v_readlane_b32 s0, v37, 54
	v_readlane_b32 s1, v37, 55
	s_and_b64 s[0:1], s[18:19], s[0:1]
	s_mov_b64 exec, s[0:1]
	s_cbranch_execz .LBB0_108
; %bb.104:
	s_abs_i32 s3, s72
	v_cvt_f32_u32_e32 v1, s3
	s_add_i32 s33, s96, s70
	s_add_i32 s46, s97, s71
	s_not_b32 s47, s70
	v_rcp_iflag_f32_e32 v1, v1
	s_ashr_i32 s48, s72, 31
	s_sub_i32 s44, 0, s3
	s_add_u32 s0, s60, s14
	v_mul_f32_e32 v1, 0x4f7ffffe, v1
	v_cvt_u32_f32_e32 v1, v1
	v_mov_b32_e32 v3, 0
	s_addc_u32 s1, s61, s15
	v_lshl_add_u64 v[6:7], s[0:1], 0, v[2:3]
	v_mul_lo_u32 v3, s44, v1
	v_mul_hi_u32 v3, v1, v3
	v_add_u32_e32 v1, v1, v3
	s_mov_b64 s[44:45], 0
	v_mov_b32_e32 v3, s72
	v_mov_b32_e32 v5, v0
	s_branch .LBB0_106
.LBB0_105:                              ;   in Loop: Header=BB0_106 Depth=1
	s_or_b64 exec, exec, s[0:1]
	v_add_u32_e32 v5, 0x100, v5
	v_cmp_le_i32_e32 vcc, s74, v5
	s_mov_b64 s[0:1], 0x400
	s_waitcnt vmcnt(0)
	global_store_dword v[6:7], v10, off
	s_or_b64 s[44:45], vcc, s[44:45]
	v_lshl_add_u64 v[6:7], v[6:7], 0, s[0:1]
	s_andn2_b64 exec, exec, s[44:45]
	s_cbranch_execz .LBB0_108
.LBB0_106:                              ; =>This Inner Loop Header: Depth=1
	v_add_u32_e32 v8, 1, v5
	v_not_b32_e32 v10, v5
	v_max_i32_e32 v10, v8, v10
	v_mul_hi_u32 v11, v10, v1
	v_mul_lo_u32 v16, v11, s3
	v_sub_u32_e32 v10, v10, v16
	v_add_u32_e32 v16, 1, v11
	v_cmp_le_u32_e32 vcc, s3, v10
	v_ashrrev_i32_e32 v9, 31, v8
	v_xor_b32_e32 v9, s48, v9
	v_cndmask_b32_e32 v11, v11, v16, vcc
	v_subrev_u32_e32 v16, s3, v10
	v_cndmask_b32_e32 v10, v10, v16, vcc
	v_add_u32_e32 v16, 1, v11
	v_cmp_le_u32_e32 vcc, s3, v10
	s_nop 1
	v_cndmask_b32_e32 v10, v11, v16, vcc
	v_xor_b32_e32 v10, v10, v9
	v_sub_u32_e32 v11, v10, v9
	v_mul_lo_u32 v11, v11, s72
	v_sub_u32_e32 v8, v8, v11
	v_cmp_eq_u32_e32 vcc, 0, v8
	s_nop 1
	v_subb_co_u32_e64 v9, s[0:1], v10, v9, vcc
	v_cndmask_b32_e32 v8, v8, v3, vcc
	v_cmp_lt_i32_e32 vcc, s70, v8
	v_cmp_ge_i32_e64 s[0:1], s33, v8
	s_and_b64 s[0:1], vcc, s[0:1]
	v_cmp_le_i32_e32 vcc, s71, v9
	s_and_b64 s[0:1], s[0:1], vcc
	v_cmp_gt_i32_e32 vcc, s46, v9
	s_and_b64 s[50:51], s[0:1], vcc
	v_mov_b32_e32 v10, 0
	s_and_saveexec_b64 s[0:1], s[50:51]
	s_cbranch_execz .LBB0_105
; %bb.107:                              ;   in Loop: Header=BB0_106 Depth=1
	v_subrev_u32_e32 v9, s71, v9
	v_mul_lo_u32 v9, v9, s96
	v_add3_u32 v8, v8, s47, v9
	v_ashrrev_i32_e32 v9, 31, v8
	v_lshl_add_u64 v[8:9], v[8:9], 2, s[16:17]
	global_load_dword v10, v[8:9], off
	s_branch .LBB0_105
.LBB0_108:
	s_or_b64 exec, exec, s[18:19]
	s_barrier
	s_mov_b64 s[16:17], exec
	v_readlane_b32 s0, v37, 56
	v_readlane_b32 s1, v37, 57
	s_and_b64 s[0:1], s[16:17], s[0:1]
	v_readlane_b32 s50, v37, 19
	s_mov_b64 exec, s[0:1]
	s_cbranch_execz .LBB0_115
; %bb.109:
	s_cmp_gt_i32 s72, 0
	s_cselect_b64 s[0:1], -1, 0
	s_add_u32 s14, s60, s14
	v_cndmask_b32_e64 v1, 0, 1, s[0:1]
	s_addc_u32 s15, s61, s15
	s_lshl_b32 s3, s72, 8
	s_mov_b64 s[18:19], 0
	v_cmp_ne_u32_e64 s[0:1], 1, v1
	v_mov_b32_e32 v5, 0
	v_mov_b32_e32 v1, v0
	s_branch .LBB0_111
.LBB0_110:                              ;   in Loop: Header=BB0_111 Depth=1
	v_add_u32_e32 v1, 0x100, v1
	v_cmp_le_i32_e32 vcc, s73, v1
	s_or_b64 s[18:19], vcc, s[18:19]
	v_add_u32_e32 v4, s3, v4
	s_andn2_b64 exec, exec, s[18:19]
	s_cbranch_execz .LBB0_115
.LBB0_111:                              ; =>This Loop Header: Depth=1
                                        ;     Child Loop BB0_113 Depth 2
	s_and_b64 vcc, exec, s[0:1]
	s_cbranch_vccnz .LBB0_110
; %bb.112:                              ;   in Loop: Header=BB0_111 Depth=1
	v_mul_lo_u32 v3, v1, s72
	v_lshl_add_u64 v[6:7], v[4:5], 2, s[14:15]
	v_add_u32_e32 v8, s72, v3
	v_mov_b32_e32 v9, 0
	s_mov_b64 s[44:45], 0
.LBB0_113:                              ;   Parent Loop BB0_111 Depth=1
                                        ; =>  This Inner Loop Header: Depth=2
	global_load_dword v10, v[6:7], off
	v_add_u32_e32 v3, 1, v3
	v_cmp_ge_i32_e32 vcc, v3, v8
	s_or_b64 s[44:45], vcc, s[44:45]
	s_waitcnt vmcnt(0)
	v_add_f32_e32 v9, v9, v10
	global_store_dword v[6:7], v9, off
	v_lshl_add_u64 v[6:7], v[6:7], 0, 4
	s_andn2_b64 exec, exec, s[44:45]
	s_cbranch_execnz .LBB0_113
; %bb.114:                              ;   in Loop: Header=BB0_111 Depth=1
	s_or_b64 exec, exec, s[44:45]
	s_branch .LBB0_110
.LBB0_115:
	s_or_b64 exec, exec, s[16:17]
	s_barrier
	s_mov_b64 s[14:15], exec
	v_readlane_b32 s0, v37, 60
	v_readlane_b32 s1, v37, 61
	s_and_b64 s[0:1], s[14:15], s[0:1]
	s_mov_b32 s51, s91
	v_readlane_b32 s20, v37, 5
	v_readlane_b32 s91, v36, 0
	s_mov_b64 exec, s[0:1]
	s_cbranch_execz .LBB0_123
; %bb.116:
	v_readlane_b32 s0, v36, 1
	s_add_i32 s44, s0, -1
	s_movk_i32 s0, 0xff
	s_add_i32 s45, s21, -2
	v_cmp_lt_u32_e32 vcc, s0, v14
	s_mov_b64 s[0:1], -1
	v_mov_b32_e32 v4, v0
	s_and_saveexec_b64 s[16:17], vcc
	s_cbranch_execz .LBB0_120
; %bb.117:
	s_abs_i32 s46, s83
	v_cvt_f32_u32_e32 v4, s46
	v_lshrrev_b32_e32 v1, 8, v14
	v_add_u32_e32 v3, 1, v1
	s_sub_i32 s0, 0, s46
	v_rcp_iflag_f32_e32 v1, v4
	v_and_b32_e32 v8, 0x1fffffe, v3
	s_mov_b32 s47, s44
	s_mov_b32 s33, s45
	v_mul_f32_e32 v1, 0x4f7ffffe, v1
	v_cvt_u32_f32_e32 v4, v1
	v_add_u32_e32 v1, 0x100, v0
	s_mov_b32 s50, s83
	s_mov_b32 s3, s72
	v_mul_lo_u32 v5, s0, v4
	v_mul_hi_u32 v5, v4, v5
	s_ashr_i32 s48, s83, 31
	v_add_u32_e32 v9, v4, v5
	v_mov_b32_e32 v5, 0
	s_mov_b64 s[18:19], 0
	v_mov_b32_e32 v10, s83
	v_mov_b32_e32 v11, s83
	;; [unrolled: 1-line block ×3, first 2 shown]
	v_mov_b64_e32 v[6:7], v[0:1]
.LBB0_118:                              ; =>This Inner Loop Header: Depth=1
	v_add_u32_e32 v4, 1, v6
	v_not_b32_e32 v16, v6
	v_add_u32_e32 v1, 1, v7
	v_not_b32_e32 v17, v7
	v_max_i32_e32 v16, v4, v16
	v_max_i32_e32 v17, v1, v17
	v_mul_hi_u32 v20, v16, v9
	v_mul_hi_u32 v21, v17, v9
	v_mul_lo_u32 v22, v20, s46
	v_mul_lo_u32 v24, v21, s46
	v_sub_u32_e32 v16, v16, v22
	v_add_u32_e32 v23, 1, v20
	v_sub_u32_e32 v17, v17, v24
	v_subrev_u32_e32 v22, s46, v16
	v_cmp_le_u32_e32 vcc, s46, v16
	v_add_u32_e32 v25, 1, v21
	v_subrev_u32_e32 v24, s46, v17
	v_cndmask_b32_e32 v20, v20, v23, vcc
	v_cmp_le_u32_e64 s[0:1], s46, v17
	v_cndmask_b32_e32 v16, v16, v22, vcc
	v_ashrrev_i32_e32 v18, 31, v4
	v_cndmask_b32_e64 v21, v21, v25, s[0:1]
	v_cndmask_b32_e64 v17, v17, v24, s[0:1]
	v_add_u32_e32 v22, 1, v20
	v_cmp_le_u32_e32 vcc, s46, v16
	v_ashrrev_i32_e32 v19, 31, v1
	v_xor_b32_e32 v18, s48, v18
	v_add_u32_e32 v23, 1, v21
	v_cndmask_b32_e32 v16, v20, v22, vcc
	v_cmp_le_u32_e32 vcc, s46, v17
	v_xor_b32_e32 v19, s48, v19
	v_xor_b32_e32 v16, v16, v18
	v_cndmask_b32_e32 v17, v21, v23, vcc
	v_xor_b32_e32 v17, v17, v19
	v_sub_u32_e32 v16, v16, v18
	v_sub_u32_e32 v17, v17, v19
	v_mul_lo_u32 v18, v16, s83
	v_mul_lo_u32 v19, v17, s50
	v_sub_u32_e32 v4, v4, v18
	v_add_u32_e32 v16, s44, v16
	v_sub_u32_e32 v1, v1, v19
	v_cmp_eq_u32_e64 s[0:1], 0, v4
	v_add_u32_e32 v17, s47, v17
	v_cmp_eq_u32_e32 vcc, 0, v1
	v_cndmask_b32_e64 v4, v4, v11, s[0:1]
	v_subbrev_co_u32_e64 v16, s[0:1], 0, v16, s[0:1]
	v_cndmask_b32_e32 v1, v1, v10, vcc
	v_subbrev_co_u32_e32 v17, vcc, 0, v17, vcc
	v_mul_lo_u32 v16, v16, s72
	v_mul_lo_u32 v17, v17, s3
	v_add3_u32 v16, s45, v4, v16
	v_add3_u32 v18, s33, v1, v17
	v_ashrrev_i32_e32 v17, 31, v16
	v_ashrrev_i32_e32 v19, 31, v18
	v_lshl_add_u64 v[16:17], v[16:17], 2, s[10:11]
	v_lshl_add_u64 v[18:19], v[18:19], 2, s[10:11]
	global_load_dword v1, v[16:17], off
	global_load_dword v20, v[18:19], off
	v_add_u32_e32 v14, -2, v14
	v_mov_b32_e32 v4, v6
	v_cmp_eq_u32_e32 vcc, 0, v14
	v_add_u32_e32 v6, 0x200, v6
	v_lshl_add_u64 v[16:17], v[4:5], 2, s[34:35]
	v_mov_b32_e32 v4, v7
	v_add_u32_e32 v7, 0x200, v7
	s_or_b64 s[18:19], vcc, s[18:19]
	v_lshl_add_u64 v[18:19], v[4:5], 2, s[34:35]
	s_waitcnt vmcnt(1)
	global_store_dword v[16:17], v1, off
	s_waitcnt vmcnt(1)
	global_store_dword v[18:19], v20, off
	s_andn2_b64 exec, exec, s[18:19]
	s_cbranch_execnz .LBB0_118
; %bb.119:
	s_or_b64 exec, exec, s[18:19]
	v_cmp_ne_u32_e32 vcc, v3, v8
	v_lshl_add_u32 v4, v8, 8, v0
	s_orn2_b64 s[0:1], vcc, exec
	v_readlane_b32 s50, v37, 19
.LBB0_120:
	s_or_b64 exec, exec, s[16:17]
	s_and_b64 exec, exec, s[0:1]
	s_cbranch_execz .LBB0_123
; %bb.121:
	s_abs_i32 s3, s83
	v_cvt_f32_u32_e32 v1, s3
	s_ashr_i32 s16, s83, 31
	s_sub_i32 s17, 0, s3
	s_add_u32 s18, s62, s86
	v_rcp_iflag_f32_e32 v3, v1
	v_mov_b32_e32 v5, 0
	s_addc_u32 s19, s63, s87
	v_lshl_add_u64 v[6:7], v[4:5], 2, s[18:19]
	v_mul_f32_e32 v3, 0x4f7ffffe, v3
	v_cvt_u32_f32_e32 v3, v3
	s_mov_b64 s[0:1], 0
	v_mov_b32_e32 v1, s83
	s_mov_b64 s[18:19], 0x400
	v_mul_lo_u32 v5, s17, v3
	v_mul_hi_u32 v5, v3, v5
	v_add_u32_e32 v3, v3, v5
.LBB0_122:                              ; =>This Inner Loop Header: Depth=1
	v_add_u32_e32 v5, 1, v4
	v_not_b32_e32 v8, v4
	v_max_i32_e32 v8, v5, v8
	v_mul_hi_u32 v10, v8, v3
	v_mul_lo_u32 v11, v10, s3
	v_sub_u32_e32 v8, v8, v11
	v_add_u32_e32 v14, 1, v10
	v_subrev_u32_e32 v11, s3, v8
	v_cmp_le_u32_e32 vcc, s3, v8
	v_ashrrev_i32_e32 v9, 31, v5
	v_xor_b32_e32 v9, s16, v9
	v_cndmask_b32_e32 v10, v10, v14, vcc
	v_cndmask_b32_e32 v8, v8, v11, vcc
	v_add_u32_e32 v11, 1, v10
	v_cmp_le_u32_e32 vcc, s3, v8
	v_add_u32_e32 v4, 0x100, v4
	s_nop 0
	v_cndmask_b32_e32 v8, v10, v11, vcc
	v_xor_b32_e32 v8, v8, v9
	v_sub_u32_e32 v8, v8, v9
	v_mul_lo_u32 v9, v8, s83
	v_sub_u32_e32 v5, v5, v9
	v_add_u32_e32 v8, s44, v8
	v_cmp_eq_u32_e32 vcc, 0, v5
	s_nop 1
	v_cndmask_b32_e32 v5, v5, v1, vcc
	v_subbrev_co_u32_e32 v8, vcc, 0, v8, vcc
	v_mul_lo_u32 v8, v8, s72
	v_add3_u32 v8, s45, v5, v8
	v_ashrrev_i32_e32 v9, 31, v8
	v_lshl_add_u64 v[8:9], v[8:9], 2, s[10:11]
	global_load_dword v5, v[8:9], off
	v_cmp_le_i32_e32 vcc, s99, v4
	s_or_b64 s[0:1], vcc, s[0:1]
	s_waitcnt vmcnt(0)
	global_store_dword v[6:7], v5, off
	v_lshl_add_u64 v[6:7], v[6:7], 0, s[18:19]
	s_andn2_b64 exec, exec, s[0:1]
	s_cbranch_execnz .LBB0_122
.LBB0_123:
	s_or_b64 exec, exec, s[14:15]
	s_barrier
	s_and_saveexec_b64 s[14:15], s[8:9]
	s_cbranch_execz .LBB0_131
; %bb.124:
	v_readlane_b32 s0, v36, 2
	s_add_i32 s44, s0, -1
	v_readlane_b32 s0, v36, 3
	s_add_i32 s33, s0, -2
	s_movk_i32 s0, 0xff
	v_cmp_lt_u32_e32 vcc, s0, v13
	s_mov_b64 s[0:1], -1
	v_mov_b32_e32 v4, v0
	s_and_saveexec_b64 s[16:17], vcc
	s_cbranch_execz .LBB0_128
; %bb.125:
	s_abs_i32 s45, s90
	v_cvt_f32_u32_e32 v4, s45
	v_lshrrev_b32_e32 v1, 8, v13
	v_add_u32_e32 v3, 1, v1
	s_sub_i32 s0, 0, s45
	v_rcp_iflag_f32_e32 v1, v4
	v_and_b32_e32 v8, 0x1fffffe, v3
	s_mov_b32 s46, s44
	s_mov_b32 s47, s33
	v_mul_f32_e32 v1, 0x4f7ffffe, v1
	v_cvt_u32_f32_e32 v4, v1
	v_add_u32_e32 v1, 0x100, v0
	s_mov_b32 s48, s90
	s_mov_b32 s3, s72
	v_mul_lo_u32 v5, s0, v4
	v_mul_hi_u32 v5, v4, v5
	s_ashr_i32 s50, s90, 31
	v_add_u32_e32 v9, v4, v5
	v_mov_b32_e32 v5, 0
	s_mov_b64 s[18:19], 0
	v_mov_b32_e32 v10, s90
	v_mov_b32_e32 v11, s90
	;; [unrolled: 1-line block ×3, first 2 shown]
	v_mov_b64_e32 v[6:7], v[0:1]
.LBB0_126:                              ; =>This Inner Loop Header: Depth=1
	v_add_u32_e32 v4, 1, v6
	v_not_b32_e32 v16, v6
	v_add_u32_e32 v1, 1, v7
	v_not_b32_e32 v17, v7
	v_max_i32_e32 v16, v4, v16
	v_max_i32_e32 v17, v1, v17
	v_mul_hi_u32 v20, v16, v9
	v_mul_hi_u32 v21, v17, v9
	v_mul_lo_u32 v22, v20, s45
	v_mul_lo_u32 v24, v21, s45
	v_sub_u32_e32 v16, v16, v22
	v_add_u32_e32 v23, 1, v20
	v_sub_u32_e32 v17, v17, v24
	v_subrev_u32_e32 v22, s45, v16
	v_cmp_le_u32_e32 vcc, s45, v16
	v_add_u32_e32 v25, 1, v21
	v_subrev_u32_e32 v24, s45, v17
	v_cndmask_b32_e32 v20, v20, v23, vcc
	v_cmp_le_u32_e64 s[0:1], s45, v17
	v_cndmask_b32_e32 v16, v16, v22, vcc
	v_ashrrev_i32_e32 v18, 31, v4
	v_cndmask_b32_e64 v21, v21, v25, s[0:1]
	v_cndmask_b32_e64 v17, v17, v24, s[0:1]
	v_add_u32_e32 v22, 1, v20
	v_cmp_le_u32_e32 vcc, s45, v16
	v_ashrrev_i32_e32 v19, 31, v1
	v_xor_b32_e32 v18, s50, v18
	v_add_u32_e32 v23, 1, v21
	v_cndmask_b32_e32 v16, v20, v22, vcc
	v_cmp_le_u32_e32 vcc, s45, v17
	v_xor_b32_e32 v19, s50, v19
	v_xor_b32_e32 v16, v16, v18
	v_cndmask_b32_e32 v17, v21, v23, vcc
	v_xor_b32_e32 v17, v17, v19
	v_sub_u32_e32 v16, v16, v18
	v_sub_u32_e32 v17, v17, v19
	v_mul_lo_u32 v18, v16, s90
	v_mul_lo_u32 v19, v17, s48
	v_sub_u32_e32 v4, v4, v18
	v_add_u32_e32 v16, s44, v16
	v_sub_u32_e32 v1, v1, v19
	v_cmp_eq_u32_e64 s[0:1], 0, v4
	v_add_u32_e32 v17, s46, v17
	v_cmp_eq_u32_e32 vcc, 0, v1
	v_cndmask_b32_e64 v4, v4, v11, s[0:1]
	v_subbrev_co_u32_e64 v16, s[0:1], 0, v16, s[0:1]
	v_cndmask_b32_e32 v1, v1, v10, vcc
	v_subbrev_co_u32_e32 v17, vcc, 0, v17, vcc
	v_mul_lo_u32 v16, v16, s72
	v_mul_lo_u32 v17, v17, s3
	v_add3_u32 v16, s33, v4, v16
	v_add3_u32 v18, s47, v1, v17
	v_ashrrev_i32_e32 v17, 31, v16
	v_ashrrev_i32_e32 v19, 31, v18
	v_lshl_add_u64 v[16:17], v[16:17], 2, s[10:11]
	v_lshl_add_u64 v[18:19], v[18:19], 2, s[10:11]
	global_load_dword v1, v[16:17], off
	global_load_dword v20, v[18:19], off
	v_add_u32_e32 v14, -2, v14
	v_mov_b32_e32 v4, v6
	v_cmp_eq_u32_e32 vcc, 0, v14
	v_add_u32_e32 v6, 0x200, v6
	v_lshl_add_u64 v[16:17], v[4:5], 2, s[92:93]
	v_mov_b32_e32 v4, v7
	v_add_u32_e32 v7, 0x200, v7
	s_or_b64 s[18:19], vcc, s[18:19]
	v_lshl_add_u64 v[18:19], v[4:5], 2, s[92:93]
	s_waitcnt vmcnt(1)
	global_store_dword v[16:17], v1, off
	s_waitcnt vmcnt(1)
	global_store_dword v[18:19], v20, off
	s_andn2_b64 exec, exec, s[18:19]
	s_cbranch_execnz .LBB0_126
; %bb.127:
	s_or_b64 exec, exec, s[18:19]
	v_cmp_ne_u32_e32 vcc, v3, v8
	v_lshl_add_u32 v4, v8, 8, v0
	s_orn2_b64 s[0:1], vcc, exec
	v_readlane_b32 s50, v37, 19
.LBB0_128:
	s_or_b64 exec, exec, s[16:17]
	s_and_b64 exec, exec, s[0:1]
	s_cbranch_execz .LBB0_131
; %bb.129:
	s_abs_i32 s3, s90
	v_cvt_f32_u32_e32 v1, s3
	s_ashr_i32 s16, s90, 31
	s_sub_i32 s17, 0, s3
	s_add_u32 s18, s64, s12
	v_rcp_iflag_f32_e32 v3, v1
	v_mov_b32_e32 v5, 0
	s_addc_u32 s19, s65, s13
	v_lshl_add_u64 v[6:7], v[4:5], 2, s[18:19]
	v_mul_f32_e32 v3, 0x4f7ffffe, v3
	v_cvt_u32_f32_e32 v3, v3
	s_mov_b64 s[0:1], 0
	v_mov_b32_e32 v1, s90
	s_mov_b64 s[18:19], 0x400
	v_mul_lo_u32 v5, s17, v3
	v_mul_hi_u32 v5, v3, v5
	v_add_u32_e32 v3, v3, v5
.LBB0_130:                              ; =>This Inner Loop Header: Depth=1
	v_add_u32_e32 v5, 1, v4
	v_not_b32_e32 v8, v4
	v_max_i32_e32 v8, v5, v8
	v_mul_hi_u32 v10, v8, v3
	v_mul_lo_u32 v11, v10, s3
	v_sub_u32_e32 v8, v8, v11
	v_add_u32_e32 v14, 1, v10
	v_subrev_u32_e32 v11, s3, v8
	v_cmp_le_u32_e32 vcc, s3, v8
	v_ashrrev_i32_e32 v9, 31, v5
	v_xor_b32_e32 v9, s16, v9
	v_cndmask_b32_e32 v10, v10, v14, vcc
	v_cndmask_b32_e32 v8, v8, v11, vcc
	v_add_u32_e32 v11, 1, v10
	v_cmp_le_u32_e32 vcc, s3, v8
	v_add_u32_e32 v4, 0x100, v4
	s_nop 0
	v_cndmask_b32_e32 v8, v10, v11, vcc
	v_xor_b32_e32 v8, v8, v9
	v_sub_u32_e32 v8, v8, v9
	v_mul_lo_u32 v9, v8, s90
	v_sub_u32_e32 v5, v5, v9
	v_add_u32_e32 v8, s44, v8
	v_cmp_eq_u32_e32 vcc, 0, v5
	s_nop 1
	v_cndmask_b32_e32 v5, v5, v1, vcc
	v_subbrev_co_u32_e32 v8, vcc, 0, v8, vcc
	v_mul_lo_u32 v8, v8, s72
	v_add3_u32 v8, s33, v5, v8
	v_ashrrev_i32_e32 v9, 31, v8
	v_lshl_add_u64 v[8:9], v[8:9], 2, s[10:11]
	global_load_dword v5, v[8:9], off
	v_cmp_le_i32_e32 vcc, s49, v4
	s_or_b64 s[0:1], vcc, s[0:1]
	s_waitcnt vmcnt(0)
	global_store_dword v[6:7], v5, off
	v_lshl_add_u64 v[6:7], v[6:7], 0, s[18:19]
	s_andn2_b64 exec, exec, s[0:1]
	s_cbranch_execnz .LBB0_130
.LBB0_131:
	s_or_b64 exec, exec, s[14:15]
	s_barrier
	s_and_saveexec_b64 s[0:1], s[8:9]
	s_cbranch_execz .LBB0_139
; %bb.132:
	s_movk_i32 s3, 0x2ff
	v_cmp_lt_u32_e32 vcc, s3, v13
	s_mov_b64 s[10:11], -1
	v_mov_b32_e32 v4, v0
	s_and_saveexec_b64 s[8:9], vcc
	s_cbranch_execz .LBB0_136
; %bb.133:
	v_lshrrev_b32_e32 v1, 8, v13
	v_add_u32_e32 v3, 1, v1
	v_and_b32_e32 v8, 0x1fffffc, v3
	v_add_u32_e32 v1, 0x100, v0
	s_mov_b64 s[10:11], 0
	v_mov_b32_e32 v5, 0
	v_mov_b32_e32 v9, v8
	v_mov_b64_e32 v[6:7], v[0:1]
.LBB0_134:                              ; =>This Inner Loop Header: Depth=1
	v_add_u32_e32 v16, 0x200, v6
	v_mov_b32_e32 v4, v6
	v_mov_b32_e32 v17, v5
	v_add_u32_e32 v10, 0x200, v7
	v_mov_b32_e32 v11, v5
	v_lshlrev_b64 v[18:19], 2, v[4:5]
	v_mov_b32_e32 v4, v7
	v_lshlrev_b64 v[16:17], 2, v[16:17]
	v_lshlrev_b64 v[10:11], 2, v[10:11]
	v_lshl_add_u64 v[20:21], s[34:35], 0, v[18:19]
	v_lshlrev_b64 v[22:23], 2, v[4:5]
	v_lshl_add_u64 v[24:25], s[34:35], 0, v[16:17]
	v_lshl_add_u64 v[18:19], s[92:93], 0, v[18:19]
	;; [unrolled: 1-line block ×7, first 2 shown]
	global_load_dword v30, v[18:19], off
	global_load_dword v32, v[16:17], off
	;; [unrolled: 1-line block ×3, first 2 shown]
	s_nop 0
	global_load_dword v20, v[20:21], off
	s_nop 0
	global_load_dword v24, v[24:25], off
	;; [unrolled: 2-line block ×3, first 2 shown]
	global_load_dword v21, v[28:29], off
	global_load_dword v31, v[22:23], off
	v_add_u32_e32 v9, -4, v9
	v_cmp_eq_u32_e32 vcc, 0, v9
	v_add_u32_e32 v6, 0x400, v6
	v_add_u32_e32 v7, 0x400, v7
	s_or_b64 s[10:11], vcc, s[10:11]
	s_waitcnt vmcnt(2)
	v_pk_add_f32 v[24:25], v[24:25], v[32:33] neg_lo:[0,1] neg_hi:[0,1]
	s_waitcnt vmcnt(0)
	v_pk_add_f32 v[20:21], v[20:21], v[30:31] neg_lo:[0,1] neg_hi:[0,1]
	global_store_dword v[18:19], v20, off
	global_store_dword v[22:23], v21, off
	;; [unrolled: 1-line block ×4, first 2 shown]
	s_andn2_b64 exec, exec, s[10:11]
	s_cbranch_execnz .LBB0_134
; %bb.135:
	s_or_b64 exec, exec, s[10:11]
	v_cmp_ne_u32_e32 vcc, v3, v8
	v_lshl_or_b32 v4, v8, 8, v0
	s_orn2_b64 s[10:11], vcc, exec
.LBB0_136:
	s_or_b64 exec, exec, s[8:9]
	s_and_b64 exec, exec, s[10:11]
	s_cbranch_execz .LBB0_139
; %bb.137:
	v_mov_b32_e32 v5, 0
	s_add_u32 s8, s62, s86
	v_lshlrev_b64 v[8:9], 2, v[4:5]
	s_addc_u32 s9, s63, s87
	v_lshl_add_u64 v[6:7], s[8:9], 0, v[8:9]
	s_add_u32 s8, s64, s12
	s_addc_u32 s9, s65, s13
	v_lshl_add_u64 v[8:9], s[8:9], 0, v[8:9]
	s_mov_b64 s[8:9], 0
	s_mov_b64 s[10:11], 0x400
.LBB0_138:                              ; =>This Inner Loop Header: Depth=1
	global_load_dword v1, v[6:7], off
	global_load_dword v3, v[8:9], off
	v_add_u32_e32 v4, 0x100, v4
	v_cmp_le_i32_e32 vcc, s49, v4
	v_lshl_add_u64 v[6:7], v[6:7], 0, s[10:11]
	s_or_b64 s[8:9], vcc, s[8:9]
	s_waitcnt vmcnt(0)
	v_sub_f32_e32 v1, v1, v3
	global_store_dword v[8:9], v1, off
	v_lshl_add_u64 v[8:9], v[8:9], 0, s[10:11]
	s_andn2_b64 exec, exec, s[8:9]
	s_cbranch_execnz .LBB0_138
.LBB0_139:
	s_or_b64 exec, exec, s[0:1]
	s_barrier
	s_mov_b64 s[8:9], exec
	v_readlane_b32 s0, v37, 62
	v_readlane_b32 s1, v37, 63
	s_and_b64 s[0:1], s[8:9], s[0:1]
	s_mov_b64 exec, s[0:1]
	s_cbranch_execz .LBB0_146
; %bb.140:
	s_cmp_gt_i32 s49, 0
	s_cselect_b64 s[0:1], -1, 0
	s_add_u32 s10, s64, s12
	v_mov_b32_e32 v3, 0
	s_addc_u32 s11, s65, s13
	s_ashr_i32 s91, s90, 31
	v_cndmask_b32_e64 v1, 0, 1, s[0:1]
	v_lshl_add_u64 v[4:5], s[10:11], 0, v[2:3]
	s_lshl_b64 s[10:11], s[90:91], 2
	v_readlane_b32 s91, v36, 0
	s_mov_b64 s[12:13], 0
	v_cmp_ne_u32_e64 s[0:1], 1, v1
	v_mov_b32_e32 v1, v0
	s_branch .LBB0_142
.LBB0_141:                              ;   in Loop: Header=BB0_142 Depth=1
	v_add_u32_e32 v1, 0x100, v1
	v_cmp_le_i32_e32 vcc, s90, v1
	s_mov_b64 s[14:15], 0x400
	s_or_b64 s[12:13], vcc, s[12:13]
	v_lshl_add_u64 v[4:5], v[4:5], 0, s[14:15]
	s_andn2_b64 exec, exec, s[12:13]
	s_cbranch_execz .LBB0_146
.LBB0_142:                              ; =>This Loop Header: Depth=1
                                        ;     Child Loop BB0_144 Depth 2
	s_and_b64 vcc, exec, s[0:1]
	s_cbranch_vccnz .LBB0_141
; %bb.143:                              ;   in Loop: Header=BB0_142 Depth=1
	v_add_u32_e32 v3, s49, v1
	v_mov_b32_e32 v8, 0
	s_mov_b64 s[14:15], 0
	v_mov_b64_e32 v[6:7], v[4:5]
	v_mov_b32_e32 v9, v1
.LBB0_144:                              ;   Parent Loop BB0_142 Depth=1
                                        ; =>  This Inner Loop Header: Depth=2
	global_load_dword v10, v[6:7], off
	v_add_u32_e32 v9, s90, v9
	v_cmp_ge_i32_e32 vcc, v9, v3
	s_or_b64 s[14:15], vcc, s[14:15]
	s_waitcnt vmcnt(0)
	v_add_f32_e32 v8, v8, v10
	global_store_dword v[6:7], v8, off
	v_lshl_add_u64 v[6:7], v[6:7], 0, s[10:11]
	s_andn2_b64 exec, exec, s[14:15]
	s_cbranch_execnz .LBB0_144
; %bb.145:                              ;   in Loop: Header=BB0_142 Depth=1
	s_or_b64 exec, exec, s[14:15]
	s_branch .LBB0_141
.LBB0_146:
	s_or_b64 exec, exec, s[8:9]
	s_barrier
	s_mov_b64 s[8:9], exec
	v_readlane_b32 s0, v36, 4
	v_readlane_b32 s1, v36, 5
	s_and_b64 s[0:1], s[8:9], s[0:1]
	s_mov_b64 exec, s[0:1]
	s_cbranch_execz .LBB0_154
; %bb.147:
	v_readlane_b32 s0, v37, 50
	s_add_i32 s14, s0, -1
	v_readlane_b32 s0, v37, 49
	s_add_i32 s15, s0, -2
	s_movk_i32 s0, 0xff
	v_cmp_lt_u32_e32 vcc, s0, v15
	s_mov_b64 s[0:1], -1
	v_mov_b32_e32 v4, v0
	s_and_saveexec_b64 s[10:11], vcc
	s_cbranch_execz .LBB0_151
; %bb.148:
	s_abs_i32 s16, s39
	v_cvt_f32_u32_e32 v4, s16
	v_lshrrev_b32_e32 v1, 8, v15
	v_add_u32_e32 v3, 1, v1
	s_sub_i32 s0, 0, s16
	v_rcp_iflag_f32_e32 v1, v4
	v_and_b32_e32 v8, 0x1fffffe, v3
	s_mov_b32 s17, s14
	s_mov_b32 s18, s15
	v_mul_f32_e32 v1, 0x4f7ffffe, v1
	v_cvt_u32_f32_e32 v4, v1
	v_add_u32_e32 v1, 0x100, v0
	s_mov_b32 s19, s39
	s_mov_b32 s3, s90
	v_mul_lo_u32 v5, s0, v4
	v_mul_hi_u32 v5, v4, v5
	s_ashr_i32 s33, s39, 31
	v_add_u32_e32 v9, v4, v5
	v_mov_b32_e32 v5, 0
	s_mov_b64 s[12:13], 0
	v_mov_b32_e32 v10, s39
	v_mov_b32_e32 v11, s39
	;; [unrolled: 1-line block ×3, first 2 shown]
	v_mov_b64_e32 v[6:7], v[0:1]
.LBB0_149:                              ; =>This Inner Loop Header: Depth=1
	v_add_u32_e32 v4, 1, v6
	v_not_b32_e32 v14, v6
	v_add_u32_e32 v1, 1, v7
	v_not_b32_e32 v15, v7
	v_max_i32_e32 v14, v4, v14
	v_max_i32_e32 v15, v1, v15
	v_mul_hi_u32 v18, v14, v9
	v_mul_hi_u32 v19, v15, v9
	v_mul_lo_u32 v20, v18, s16
	v_mul_lo_u32 v22, v19, s16
	v_sub_u32_e32 v14, v14, v20
	v_add_u32_e32 v21, 1, v18
	v_sub_u32_e32 v15, v15, v22
	v_subrev_u32_e32 v20, s16, v14
	v_cmp_le_u32_e32 vcc, s16, v14
	v_add_u32_e32 v23, 1, v19
	v_subrev_u32_e32 v22, s16, v15
	v_cndmask_b32_e32 v18, v18, v21, vcc
	v_cmp_le_u32_e64 s[0:1], s16, v15
	v_cndmask_b32_e32 v14, v14, v20, vcc
	v_ashrrev_i32_e32 v16, 31, v4
	v_cndmask_b32_e64 v19, v19, v23, s[0:1]
	v_cndmask_b32_e64 v15, v15, v22, s[0:1]
	v_add_u32_e32 v20, 1, v18
	v_cmp_le_u32_e32 vcc, s16, v14
	v_ashrrev_i32_e32 v17, 31, v1
	v_xor_b32_e32 v16, s33, v16
	v_add_u32_e32 v21, 1, v19
	v_cndmask_b32_e32 v14, v18, v20, vcc
	v_cmp_le_u32_e32 vcc, s16, v15
	v_xor_b32_e32 v17, s33, v17
	v_xor_b32_e32 v14, v14, v16
	v_cndmask_b32_e32 v15, v19, v21, vcc
	v_xor_b32_e32 v15, v15, v17
	v_sub_u32_e32 v14, v14, v16
	v_sub_u32_e32 v15, v15, v17
	v_mul_lo_u32 v16, v14, s39
	v_mul_lo_u32 v17, v15, s19
	v_sub_u32_e32 v4, v4, v16
	v_add_u32_e32 v14, s14, v14
	v_sub_u32_e32 v1, v1, v17
	v_cmp_eq_u32_e64 s[0:1], 0, v4
	v_add_u32_e32 v15, s17, v15
	v_cmp_eq_u32_e32 vcc, 0, v1
	v_cndmask_b32_e64 v4, v4, v11, s[0:1]
	v_subbrev_co_u32_e64 v14, s[0:1], 0, v14, s[0:1]
	v_cndmask_b32_e32 v1, v1, v10, vcc
	v_subbrev_co_u32_e32 v15, vcc, 0, v15, vcc
	v_mul_lo_u32 v14, v14, s90
	v_mul_lo_u32 v15, v15, s3
	v_add3_u32 v14, s15, v4, v14
	v_add3_u32 v16, s18, v1, v15
	v_ashrrev_i32_e32 v15, 31, v14
	v_ashrrev_i32_e32 v17, 31, v16
	v_lshl_add_u64 v[14:15], v[14:15], 2, s[92:93]
	v_lshl_add_u64 v[16:17], v[16:17], 2, s[92:93]
	global_load_dword v1, v[14:15], off
	global_load_dword v18, v[16:17], off
	v_add_u32_e32 v13, -2, v13
	v_mov_b32_e32 v4, v6
	v_cmp_eq_u32_e32 vcc, 0, v13
	v_add_u32_e32 v6, 0x200, v6
	v_lshl_add_u64 v[14:15], v[4:5], 2, s[94:95]
	v_mov_b32_e32 v4, v7
	v_add_u32_e32 v7, 0x200, v7
	s_or_b64 s[12:13], vcc, s[12:13]
	v_lshl_add_u64 v[16:17], v[4:5], 2, s[94:95]
	s_waitcnt vmcnt(1)
	global_store_dword v[14:15], v1, off
	s_waitcnt vmcnt(1)
	global_store_dword v[16:17], v18, off
	s_andn2_b64 exec, exec, s[12:13]
	s_cbranch_execnz .LBB0_149
; %bb.150:
	s_or_b64 exec, exec, s[12:13]
	v_cmp_ne_u32_e32 vcc, v3, v8
	v_lshl_add_u32 v4, v8, 8, v0
	s_orn2_b64 s[0:1], vcc, exec
.LBB0_151:
	s_or_b64 exec, exec, s[10:11]
	s_and_b64 exec, exec, s[0:1]
	s_cbranch_execz .LBB0_154
; %bb.152:
	s_abs_i32 s3, s39
	v_cvt_f32_u32_e32 v1, s3
	s_ashr_i32 s10, s39, 31
	s_sub_i32 s11, 0, s3
	s_add_u32 s12, s66, s68
	v_rcp_iflag_f32_e32 v3, v1
	v_mov_b32_e32 v5, 0
	s_addc_u32 s13, s67, s69
	v_lshl_add_u64 v[6:7], v[4:5], 2, s[12:13]
	v_mul_f32_e32 v3, 0x4f7ffffe, v3
	v_cvt_u32_f32_e32 v3, v3
	s_mov_b64 s[0:1], 0
	v_mov_b32_e32 v1, s39
	s_mov_b64 s[12:13], 0x400
	v_mul_lo_u32 v5, s11, v3
	v_mul_hi_u32 v5, v3, v5
	v_add_u32_e32 v3, v3, v5
.LBB0_153:                              ; =>This Inner Loop Header: Depth=1
	v_add_u32_e32 v5, 1, v4
	v_not_b32_e32 v8, v4
	v_max_i32_e32 v8, v5, v8
	v_mul_hi_u32 v10, v8, v3
	v_mul_lo_u32 v11, v10, s3
	v_sub_u32_e32 v8, v8, v11
	v_add_u32_e32 v13, 1, v10
	v_subrev_u32_e32 v11, s3, v8
	v_cmp_le_u32_e32 vcc, s3, v8
	v_ashrrev_i32_e32 v9, 31, v5
	v_xor_b32_e32 v9, s10, v9
	v_cndmask_b32_e32 v10, v10, v13, vcc
	v_cndmask_b32_e32 v8, v8, v11, vcc
	v_add_u32_e32 v11, 1, v10
	v_cmp_le_u32_e32 vcc, s3, v8
	v_add_u32_e32 v4, 0x100, v4
	s_nop 0
	v_cndmask_b32_e32 v8, v10, v11, vcc
	v_xor_b32_e32 v8, v8, v9
	v_sub_u32_e32 v8, v8, v9
	v_mul_lo_u32 v9, v8, s39
	v_sub_u32_e32 v5, v5, v9
	v_add_u32_e32 v8, s14, v8
	v_cmp_eq_u32_e32 vcc, 0, v5
	s_nop 1
	v_cndmask_b32_e32 v5, v5, v1, vcc
	v_subbrev_co_u32_e32 v8, vcc, 0, v8, vcc
	v_mul_lo_u32 v8, v8, s90
	v_add3_u32 v8, s15, v5, v8
	v_ashrrev_i32_e32 v9, 31, v8
	v_lshl_add_u64 v[8:9], v[8:9], 2, s[92:93]
	global_load_dword v5, v[8:9], off
	v_cmp_le_i32_e32 vcc, s75, v4
	s_or_b64 s[0:1], vcc, s[0:1]
	s_waitcnt vmcnt(0)
	global_store_dword v[6:7], v5, off
	v_lshl_add_u64 v[6:7], v[6:7], 0, s[12:13]
	s_andn2_b64 exec, exec, s[0:1]
	s_cbranch_execnz .LBB0_153
.LBB0_154:
	s_or_b64 exec, exec, s[8:9]
	v_readlane_b32 s0, v37, 53
	s_mul_i32 s0, s0, s2
	s_ashr_i32 s1, s0, 31
	s_lshl_b64 s[14:15], s[0:1], 2
	s_add_u32 s12, s56, s14
	s_addc_u32 s13, s57, s15
	s_barrier
	s_and_saveexec_b64 s[8:9], s[6:7]
	s_cbranch_execz .LBB0_162
; %bb.155:
	v_readlane_b32 s0, v37, 52
	s_add_i32 s18, s0, -1
	v_readlane_b32 s0, v37, 51
	s_add_i32 s19, s0, -2
	s_movk_i32 s0, 0xff
	v_cmp_lt_u32_e32 vcc, s0, v12
	s_mov_b64 s[0:1], -1
	v_mov_b32_e32 v4, v0
	s_and_saveexec_b64 s[10:11], vcc
	s_cbranch_execz .LBB0_159
; %bb.156:
	s_abs_i32 s33, s79
	v_cvt_f32_u32_e32 v4, s33
	v_lshrrev_b32_e32 v1, 8, v12
	v_add_u32_e32 v3, 1, v1
	s_sub_i32 s0, 0, s33
	v_rcp_iflag_f32_e32 v1, v4
	v_and_b32_e32 v8, 0x1fffffe, v3
	s_mov_b32 s34, s18
	s_mov_b32 s35, s19
	v_mul_f32_e32 v1, 0x4f7ffffe, v1
	v_cvt_u32_f32_e32 v4, v1
	v_add_u32_e32 v1, 0x100, v0
	s_mov_b32 s39, s79
	s_mov_b32 s3, s90
	v_mul_lo_u32 v5, s0, v4
	v_mul_hi_u32 v5, v4, v5
	s_ashr_i32 s44, s79, 31
	v_add_u32_e32 v9, v4, v5
	v_mov_b32_e32 v5, 0
	s_mov_b64 s[16:17], 0
	v_mov_b32_e32 v10, s79
	v_mov_b32_e32 v11, s79
	;; [unrolled: 1-line block ×3, first 2 shown]
	v_mov_b64_e32 v[6:7], v[0:1]
.LBB0_157:                              ; =>This Inner Loop Header: Depth=1
	v_add_u32_e32 v4, 1, v6
	v_not_b32_e32 v14, v6
	v_add_u32_e32 v1, 1, v7
	v_not_b32_e32 v15, v7
	v_max_i32_e32 v14, v4, v14
	v_max_i32_e32 v15, v1, v15
	v_mul_hi_u32 v18, v14, v9
	v_mul_hi_u32 v19, v15, v9
	v_mul_lo_u32 v20, v18, s33
	v_mul_lo_u32 v22, v19, s33
	v_sub_u32_e32 v14, v14, v20
	v_add_u32_e32 v21, 1, v18
	v_sub_u32_e32 v15, v15, v22
	v_subrev_u32_e32 v20, s33, v14
	v_cmp_le_u32_e32 vcc, s33, v14
	v_add_u32_e32 v23, 1, v19
	v_subrev_u32_e32 v22, s33, v15
	v_cndmask_b32_e32 v18, v18, v21, vcc
	v_cmp_le_u32_e64 s[0:1], s33, v15
	v_cndmask_b32_e32 v14, v14, v20, vcc
	v_ashrrev_i32_e32 v16, 31, v4
	v_cndmask_b32_e64 v19, v19, v23, s[0:1]
	v_cndmask_b32_e64 v15, v15, v22, s[0:1]
	v_add_u32_e32 v20, 1, v18
	v_cmp_le_u32_e32 vcc, s33, v14
	v_ashrrev_i32_e32 v17, 31, v1
	v_xor_b32_e32 v16, s44, v16
	v_add_u32_e32 v21, 1, v19
	v_cndmask_b32_e32 v14, v18, v20, vcc
	v_cmp_le_u32_e32 vcc, s33, v15
	v_xor_b32_e32 v17, s44, v17
	v_xor_b32_e32 v14, v14, v16
	v_cndmask_b32_e32 v15, v19, v21, vcc
	v_xor_b32_e32 v15, v15, v17
	v_sub_u32_e32 v14, v14, v16
	v_sub_u32_e32 v15, v15, v17
	v_mul_lo_u32 v16, v14, s79
	v_mul_lo_u32 v17, v15, s39
	v_sub_u32_e32 v4, v4, v16
	v_add_u32_e32 v14, s18, v14
	v_sub_u32_e32 v1, v1, v17
	v_cmp_eq_u32_e64 s[0:1], 0, v4
	v_add_u32_e32 v15, s34, v15
	v_cmp_eq_u32_e32 vcc, 0, v1
	v_cndmask_b32_e64 v4, v4, v11, s[0:1]
	v_subbrev_co_u32_e64 v14, s[0:1], 0, v14, s[0:1]
	v_cndmask_b32_e32 v1, v1, v10, vcc
	v_subbrev_co_u32_e32 v15, vcc, 0, v15, vcc
	v_mul_lo_u32 v14, v14, s90
	v_mul_lo_u32 v15, v15, s3
	v_add3_u32 v14, s19, v4, v14
	v_add3_u32 v16, s35, v1, v15
	v_ashrrev_i32_e32 v15, 31, v14
	v_ashrrev_i32_e32 v17, 31, v16
	v_lshl_add_u64 v[14:15], v[14:15], 2, s[92:93]
	v_lshl_add_u64 v[16:17], v[16:17], 2, s[92:93]
	global_load_dword v1, v[14:15], off
	global_load_dword v18, v[16:17], off
	v_add_u32_e32 v13, -2, v13
	v_mov_b32_e32 v4, v6
	v_cmp_eq_u32_e32 vcc, 0, v13
	v_add_u32_e32 v6, 0x200, v6
	v_lshl_add_u64 v[14:15], v[4:5], 2, s[12:13]
	v_mov_b32_e32 v4, v7
	v_add_u32_e32 v7, 0x200, v7
	s_or_b64 s[16:17], vcc, s[16:17]
	v_lshl_add_u64 v[16:17], v[4:5], 2, s[12:13]
	s_waitcnt vmcnt(1)
	global_store_dword v[14:15], v1, off
	s_waitcnt vmcnt(1)
	global_store_dword v[16:17], v18, off
	s_andn2_b64 exec, exec, s[16:17]
	s_cbranch_execnz .LBB0_157
; %bb.158:
	s_or_b64 exec, exec, s[16:17]
	v_cmp_ne_u32_e32 vcc, v3, v8
	v_lshl_add_u32 v4, v8, 8, v0
	s_orn2_b64 s[0:1], vcc, exec
.LBB0_159:
	s_or_b64 exec, exec, s[10:11]
	s_and_b64 exec, exec, s[0:1]
	s_cbranch_execz .LBB0_162
; %bb.160:
	s_abs_i32 s3, s79
	v_cvt_f32_u32_e32 v1, s3
	s_ashr_i32 s10, s79, 31
	s_sub_i32 s11, 0, s3
	s_add_u32 s16, s56, s14
	v_rcp_iflag_f32_e32 v3, v1
	v_mov_b32_e32 v5, 0
	s_addc_u32 s17, s57, s15
	v_lshl_add_u64 v[6:7], v[4:5], 2, s[16:17]
	v_mul_f32_e32 v3, 0x4f7ffffe, v3
	v_cvt_u32_f32_e32 v3, v3
	s_mov_b64 s[0:1], 0
	v_mov_b32_e32 v1, s79
	s_mov_b64 s[16:17], 0x400
	v_mul_lo_u32 v5, s11, v3
	v_mul_hi_u32 v5, v3, v5
	v_add_u32_e32 v3, v3, v5
.LBB0_161:                              ; =>This Inner Loop Header: Depth=1
	v_add_u32_e32 v5, 1, v4
	v_not_b32_e32 v8, v4
	v_max_i32_e32 v8, v5, v8
	v_mul_hi_u32 v10, v8, v3
	v_mul_lo_u32 v11, v10, s3
	v_sub_u32_e32 v8, v8, v11
	v_add_u32_e32 v13, 1, v10
	v_subrev_u32_e32 v11, s3, v8
	v_cmp_le_u32_e32 vcc, s3, v8
	v_ashrrev_i32_e32 v9, 31, v5
	v_xor_b32_e32 v9, s10, v9
	v_cndmask_b32_e32 v10, v10, v13, vcc
	v_cndmask_b32_e32 v8, v8, v11, vcc
	v_add_u32_e32 v11, 1, v10
	v_cmp_le_u32_e32 vcc, s3, v8
	v_add_u32_e32 v4, 0x100, v4
	s_nop 0
	v_cndmask_b32_e32 v8, v10, v11, vcc
	v_xor_b32_e32 v8, v8, v9
	v_sub_u32_e32 v8, v8, v9
	v_mul_lo_u32 v9, v8, s79
	v_sub_u32_e32 v5, v5, v9
	v_add_u32_e32 v8, s18, v8
	v_cmp_eq_u32_e32 vcc, 0, v5
	s_nop 1
	v_cndmask_b32_e32 v5, v5, v1, vcc
	v_subbrev_co_u32_e32 v8, vcc, 0, v8, vcc
	v_mul_lo_u32 v8, v8, s90
	v_add3_u32 v8, s19, v5, v8
	v_ashrrev_i32_e32 v9, 31, v8
	v_lshl_add_u64 v[8:9], v[8:9], 2, s[92:93]
	global_load_dword v5, v[8:9], off
	v_cmp_le_i32_e32 vcc, s43, v4
	s_or_b64 s[0:1], vcc, s[0:1]
	s_waitcnt vmcnt(0)
	global_store_dword v[6:7], v5, off
	v_lshl_add_u64 v[6:7], v[6:7], 0, s[16:17]
	s_andn2_b64 exec, exec, s[0:1]
	s_cbranch_execnz .LBB0_161
.LBB0_162:
	s_or_b64 exec, exec, s[8:9]
	s_barrier
	s_and_saveexec_b64 s[0:1], s[6:7]
	s_cbranch_execz .LBB0_170
; %bb.163:
	s_movk_i32 s3, 0x2ff
	v_cmp_lt_u32_e32 vcc, s3, v12
	s_mov_b64 s[10:11], -1
	v_mov_b32_e32 v4, v0
	s_and_saveexec_b64 s[8:9], vcc
	s_cbranch_execz .LBB0_167
; %bb.164:
	v_lshrrev_b32_e32 v1, 8, v12
	v_add_u32_e32 v3, 1, v1
	v_and_b32_e32 v8, 0x1fffffc, v3
	v_add_u32_e32 v1, 0x100, v0
	s_mov_b64 s[10:11], 0
	v_mov_b32_e32 v5, 0
	v_mov_b32_e32 v9, v8
	v_mov_b64_e32 v[6:7], v[0:1]
.LBB0_165:                              ; =>This Inner Loop Header: Depth=1
	v_add_u32_e32 v14, 0x200, v6
	v_mov_b32_e32 v4, v6
	v_mov_b32_e32 v15, v5
	v_add_u32_e32 v10, 0x200, v7
	v_mov_b32_e32 v11, v5
	v_lshlrev_b64 v[16:17], 2, v[4:5]
	v_mov_b32_e32 v4, v7
	v_lshlrev_b64 v[14:15], 2, v[14:15]
	v_lshlrev_b64 v[10:11], 2, v[10:11]
	v_lshl_add_u64 v[18:19], s[94:95], 0, v[16:17]
	v_lshlrev_b64 v[20:21], 2, v[4:5]
	v_lshl_add_u64 v[22:23], s[94:95], 0, v[14:15]
	v_lshl_add_u64 v[16:17], s[12:13], 0, v[16:17]
	;; [unrolled: 1-line block ×7, first 2 shown]
	global_load_dword v28, v[16:17], off
	global_load_dword v30, v[14:15], off
	;; [unrolled: 1-line block ×3, first 2 shown]
	s_nop 0
	global_load_dword v18, v[18:19], off
	s_nop 0
	global_load_dword v22, v[22:23], off
	;; [unrolled: 2-line block ×3, first 2 shown]
	global_load_dword v19, v[26:27], off
	global_load_dword v29, v[20:21], off
	v_add_u32_e32 v9, -4, v9
	v_cmp_eq_u32_e32 vcc, 0, v9
	v_add_u32_e32 v6, 0x400, v6
	v_add_u32_e32 v7, 0x400, v7
	s_or_b64 s[10:11], vcc, s[10:11]
	s_waitcnt vmcnt(2)
	v_pk_add_f32 v[22:23], v[22:23], v[30:31] neg_lo:[0,1] neg_hi:[0,1]
	s_waitcnt vmcnt(0)
	v_pk_add_f32 v[18:19], v[18:19], v[28:29] neg_lo:[0,1] neg_hi:[0,1]
	global_store_dword v[16:17], v18, off
	global_store_dword v[20:21], v19, off
	;; [unrolled: 1-line block ×4, first 2 shown]
	s_andn2_b64 exec, exec, s[10:11]
	s_cbranch_execnz .LBB0_165
; %bb.166:
	s_or_b64 exec, exec, s[10:11]
	v_cmp_ne_u32_e32 vcc, v3, v8
	v_lshl_or_b32 v4, v8, 8, v0
	s_orn2_b64 s[10:11], vcc, exec
.LBB0_167:
	s_or_b64 exec, exec, s[8:9]
	s_and_b64 exec, exec, s[10:11]
	s_cbranch_execz .LBB0_170
; %bb.168:
	v_mov_b32_e32 v5, 0
	s_add_u32 s8, s66, s68
	v_lshlrev_b64 v[8:9], 2, v[4:5]
	s_addc_u32 s9, s67, s69
	v_lshl_add_u64 v[6:7], s[8:9], 0, v[8:9]
	s_add_u32 s8, s56, s14
	s_addc_u32 s9, s57, s15
	v_lshl_add_u64 v[8:9], s[8:9], 0, v[8:9]
	s_mov_b64 s[8:9], 0
	s_mov_b64 s[10:11], 0x400
.LBB0_169:                              ; =>This Inner Loop Header: Depth=1
	global_load_dword v1, v[6:7], off
	global_load_dword v3, v[8:9], off
	v_add_u32_e32 v4, 0x100, v4
	v_cmp_le_i32_e32 vcc, s43, v4
	v_lshl_add_u64 v[6:7], v[6:7], 0, s[10:11]
	s_or_b64 s[8:9], vcc, s[8:9]
	s_waitcnt vmcnt(0)
	v_sub_f32_e32 v1, v1, v3
	global_store_dword v[8:9], v1, off
	v_lshl_add_u64 v[8:9], v[8:9], 0, s[10:11]
	s_andn2_b64 exec, exec, s[8:9]
	s_cbranch_execnz .LBB0_169
.LBB0_170:
	s_or_b64 exec, exec, s[0:1]
	v_cvt_f32_i32_e32 v13, s82
	s_barrier
	s_and_saveexec_b64 s[16:17], s[6:7]
	s_cbranch_execz .LBB0_178
; %bb.171:
	s_movk_i32 s0, 0xff
	v_cmp_lt_u32_e32 vcc, s0, v12
	s_mov_b64 s[0:1], -1
	v_mov_b32_e32 v4, v0
	s_and_saveexec_b64 s[18:19], vcc
	s_cbranch_execz .LBB0_175
; %bb.172:
	v_lshrrev_b32_e32 v1, 8, v12
	v_add_u32_e32 v3, 1, v1
	v_and_b32_e32 v14, 0x1fffffe, v3
	v_add_u32_e32 v1, 0x100, v0
	s_mov_b64 s[34:35], 0
	v_mov_b32_e32 v5, 0
	s_mov_b32 s3, 0xf800000
	v_mov_b32_e32 v15, 0x260
	v_mov_b32_e32 v16, v14
	v_mov_b64_e32 v[6:7], v[0:1]
.LBB0_173:                              ; =>This Inner Loop Header: Depth=1
	v_mov_b32_e32 v4, v6
	v_lshlrev_b64 v[8:9], 2, v[4:5]
	v_mov_b32_e32 v4, v7
	v_lshl_add_u64 v[18:19], s[26:27], 0, v[8:9]
	v_lshlrev_b64 v[10:11], 2, v[4:5]
	v_lshl_add_u64 v[8:9], s[12:13], 0, v[8:9]
	v_lshl_add_u64 v[20:21], s[26:27], 0, v[10:11]
	;; [unrolled: 1-line block ×3, first 2 shown]
	global_load_dword v22, v[8:9], off
	s_nop 0
	global_load_dword v18, v[18:19], off
	s_nop 0
	global_load_dword v19, v[20:21], off
	global_load_dword v23, v[10:11], off
	v_add_u32_e32 v16, -2, v16
	v_cmp_eq_u32_e32 vcc, 0, v16
	s_or_b64 s[34:35], vcc, s[34:35]
	v_add_u32_e32 v6, 0x200, v6
	v_add_u32_e32 v7, 0x200, v7
	s_waitcnt vmcnt(1)
	v_pk_mul_f32 v[18:19], v[18:19], v[18:19]
	s_nop 0
	v_div_scale_f32 v1, s[0:1], v13, v13, v19
	v_div_scale_f32 v17, s[0:1], v13, v13, v18
	v_rcp_f32_e32 v21, v1
	v_rcp_f32_e32 v24, v17
	v_div_scale_f32 v4, vcc, v19, v13, v19
	v_fma_f32 v25, -v1, v21, 1.0
	v_fma_f32 v26, -v17, v24, 1.0
	v_fmac_f32_e32 v21, v25, v21
	v_div_scale_f32 v20, s[0:1], v18, v13, v18
	v_fmac_f32_e32 v24, v26, v24
	v_mul_f32_e32 v25, v4, v21
	v_mul_f32_e32 v26, v20, v24
	v_fma_f32 v27, -v1, v25, v4
	v_fma_f32 v28, -v17, v26, v20
	v_fmac_f32_e32 v25, v27, v21
	v_fmac_f32_e32 v26, v28, v24
	v_fma_f32 v1, -v1, v25, v4
	v_fma_f32 v4, -v17, v26, v20
	v_div_fmas_f32 v1, v1, v21, v25
	s_mov_b64 vcc, s[0:1]
	v_div_fixup_f32 v19, v1, v13, v19
	v_div_fmas_f32 v1, v4, v24, v26
	v_div_fixup_f32 v18, v1, v13, v18
	s_waitcnt vmcnt(0)
	v_pk_add_f32 v[18:19], v[22:23], v[18:19] neg_lo:[0,1] neg_hi:[0,1]
	s_nop 0
	v_cmp_ngt_f32_e32 vcc, 0, v18
	s_nop 1
	v_cndmask_b32_e32 v1, 0, v18, vcc
	v_cmp_ngt_f32_e32 vcc, 0, v19
	v_mul_f32_e32 v18, 0x4f800000, v1
	s_nop 0
	v_cndmask_b32_e32 v4, 0, v19, vcc
	v_cmp_gt_f32_e32 vcc, s3, v1
	v_mul_f32_e32 v17, 0x4f800000, v4
	v_cmp_gt_f32_e64 s[0:1], s3, v4
	v_cndmask_b32_e32 v1, v1, v18, vcc
	v_sqrt_f32_e32 v18, v1
	v_cndmask_b32_e64 v4, v4, v17, s[0:1]
	v_sqrt_f32_e32 v17, v4
	v_add_u32_e32 v21, -1, v18
	v_add_u32_e32 v22, 1, v18
	v_add_u32_e32 v19, -1, v17
	v_fma_f32 v25, -v21, v18, v1
	v_add_u32_e32 v20, 1, v17
	v_fma_f32 v23, -v19, v17, v4
	v_fma_f32 v26, -v22, v18, v1
	v_cmp_ge_f32_e64 s[8:9], 0, v25
	v_fma_f32 v24, -v20, v17, v4
	v_cmp_ge_f32_e64 s[10:11], 0, v23
	v_cndmask_b32_e64 v18, v18, v21, s[8:9]
	v_cmp_lt_f32_e64 s[8:9], 0, v26
	v_cndmask_b32_e64 v17, v17, v19, s[10:11]
	v_cmp_lt_f32_e64 s[10:11], 0, v24
	v_cndmask_b32_e64 v18, v18, v22, s[8:9]
	s_nop 0
	v_cndmask_b32_e64 v17, v17, v20, s[10:11]
	v_mul_f32_e32 v20, 0x37800000, v18
	v_mul_f32_e32 v19, 0x37800000, v17
	v_cndmask_b32_e32 v18, v18, v20, vcc
	v_cmp_class_f32_e32 vcc, v1, v15
	v_cndmask_b32_e64 v17, v17, v19, s[0:1]
	v_cmp_class_f32_e64 s[0:1], v4, v15
	v_cndmask_b32_e32 v1, v18, v1, vcc
	s_nop 0
	v_cndmask_b32_e64 v4, v17, v4, s[0:1]
	global_store_dword v[8:9], v1, off
	global_store_dword v[10:11], v4, off
	s_andn2_b64 exec, exec, s[34:35]
	s_cbranch_execnz .LBB0_173
; %bb.174:
	s_or_b64 exec, exec, s[34:35]
	v_cmp_ne_u32_e32 vcc, v3, v14
	v_lshl_add_u32 v4, v14, 8, v0
	s_orn2_b64 s[0:1], vcc, exec
.LBB0_175:
	s_or_b64 exec, exec, s[18:19]
	s_and_b64 exec, exec, s[0:1]
	s_cbranch_execz .LBB0_178
; %bb.176:
	v_readlane_b32 s0, v36, 6
	v_mov_b32_e32 v5, 0
	v_readlane_b32 s1, v36, 7
	s_add_u32 s0, s52, s0
	v_lshlrev_b64 v[8:9], 2, v[4:5]
	s_addc_u32 s1, s53, s1
	v_lshl_add_u64 v[6:7], s[0:1], 0, v[8:9]
	s_add_u32 s0, s56, s14
	s_addc_u32 s1, s57, s15
	v_lshl_add_u64 v[8:9], s[0:1], 0, v[8:9]
	s_mov_b64 s[8:9], 0
	s_mov_b32 s3, 0xf800000
	v_mov_b32_e32 v1, 0x260
	s_mov_b64 s[10:11], 0x400
.LBB0_177:                              ; =>This Inner Loop Header: Depth=1
	global_load_dword v3, v[6:7], off
	global_load_dword v5, v[8:9], off
	v_add_u32_e32 v4, 0x100, v4
	v_cmp_le_i32_e32 vcc, s43, v4
	s_or_b64 s[8:9], vcc, s[8:9]
	v_lshl_add_u64 v[6:7], v[6:7], 0, s[10:11]
	s_waitcnt vmcnt(1)
	v_mul_f32_e32 v3, v3, v3
	v_div_scale_f32 v10, s[0:1], v13, v13, v3
	v_rcp_f32_e32 v14, v10
	v_div_scale_f32 v11, vcc, v3, v13, v3
	v_fma_f32 v15, -v10, v14, 1.0
	v_fmac_f32_e32 v14, v15, v14
	v_mul_f32_e32 v15, v11, v14
	v_fma_f32 v16, -v10, v15, v11
	v_fmac_f32_e32 v15, v16, v14
	v_fma_f32 v10, -v10, v15, v11
	v_div_fmas_f32 v10, v10, v14, v15
	v_div_fixup_f32 v3, v10, v13, v3
	s_waitcnt vmcnt(0)
	v_sub_f32_e32 v3, v5, v3
	v_cmp_ngt_f32_e32 vcc, 0, v3
	s_nop 1
	v_cndmask_b32_e32 v3, 0, v3, vcc
	v_mul_f32_e32 v5, 0x4f800000, v3
	v_cmp_gt_f32_e32 vcc, s3, v3
	s_nop 1
	v_cndmask_b32_e32 v3, v3, v5, vcc
	v_sqrt_f32_e32 v5, v3
	s_nop 0
	v_add_u32_e32 v10, -1, v5
	v_add_u32_e32 v11, 1, v5
	v_fma_f32 v14, -v10, v5, v3
	v_fma_f32 v15, -v11, v5, v3
	v_cmp_ge_f32_e64 s[0:1], 0, v14
	s_nop 1
	v_cndmask_b32_e64 v5, v5, v10, s[0:1]
	v_cmp_lt_f32_e64 s[0:1], 0, v15
	s_nop 1
	v_cndmask_b32_e64 v5, v5, v11, s[0:1]
	v_mul_f32_e32 v10, 0x37800000, v5
	v_cndmask_b32_e32 v5, v5, v10, vcc
	v_cmp_class_f32_e32 vcc, v3, v1
	s_nop 1
	v_cndmask_b32_e32 v3, v5, v3, vcc
	global_store_dword v[8:9], v3, off
	v_lshl_add_u64 v[8:9], v[8:9], 0, s[10:11]
	s_andn2_b64 exec, exec, s[8:9]
	s_cbranch_execnz .LBB0_177
.LBB0_178:
	s_or_b64 exec, exec, s[16:17]
	s_mul_i32 s8, s38, s2
	s_ashr_i32 s9, s8, 31
	v_cmp_gt_i32_e32 vcc, s38, v0
	s_barrier
	s_and_saveexec_b64 s[0:1], vcc
	s_cbranch_execz .LBB0_186
; %bb.179:
	v_xad_u32 v1, v0, -1, s38
	s_movk_i32 s3, 0xff
	v_cmp_lt_u32_e32 vcc, s3, v1
	s_mov_b64 s[16:17], -1
	v_mov_b32_e32 v4, v0
	s_and_saveexec_b64 s[10:11], vcc
	s_cbranch_execz .LBB0_183
; %bb.180:
	v_lshrrev_b32_e32 v1, 8, v1
	v_add_u32_e32 v3, 1, v1
	s_lshl_b64 s[16:17], s[8:9], 2
	s_add_u32 s16, s58, s16
	v_and_b32_e32 v8, 0x1fffffe, v3
	v_add_u32_e32 v1, 0x100, v0
	s_addc_u32 s17, s59, s17
	s_mov_b64 s[18:19], 0
	v_mov_b32_e32 v5, 0
	v_mov_b32_e32 v9, v8
	v_mov_b64_e32 v[6:7], v[0:1]
.LBB0_181:                              ; =>This Inner Loop Header: Depth=1
	v_mov_b32_e32 v4, v6
	v_lshlrev_b64 v[10:11], 2, v[4:5]
	v_mov_b32_e32 v4, v7
	v_lshl_add_u64 v[14:15], s[22:23], 0, v[10:11]
	v_lshlrev_b64 v[16:17], 2, v[4:5]
	v_lshl_add_u64 v[18:19], s[22:23], 0, v[16:17]
	global_load_dword v14, v[14:15], off
	s_nop 0
	global_load_dword v15, v[18:19], off
	v_add_u32_e32 v9, -2, v9
	v_cmp_eq_u32_e32 vcc, 0, v9
	v_add_u32_e32 v6, 0x200, v6
	v_add_u32_e32 v7, 0x200, v7
	v_lshl_add_u64 v[10:11], s[16:17], 0, v[10:11]
	s_or_b64 s[18:19], vcc, s[18:19]
	v_lshl_add_u64 v[16:17], s[16:17], 0, v[16:17]
	s_waitcnt vmcnt(0)
	v_pk_mul_f32 v[14:15], v[14:15], v[14:15]
	global_store_dword v[10:11], v14, off
	global_store_dword v[16:17], v15, off
	s_andn2_b64 exec, exec, s[18:19]
	s_cbranch_execnz .LBB0_181
; %bb.182:
	s_or_b64 exec, exec, s[18:19]
	v_cmp_ne_u32_e32 vcc, v3, v8
	v_lshl_add_u32 v4, v8, 8, v0
	s_orn2_b64 s[16:17], vcc, exec
.LBB0_183:
	s_or_b64 exec, exec, s[10:11]
	s_and_b64 exec, exec, s[16:17]
	s_cbranch_execz .LBB0_186
; %bb.184:
	v_readlane_b32 s3, v37, 0
	v_readlane_b32 s10, v37, 2
	v_mov_b32_e32 v5, 0
	v_readlane_b32 s11, v37, 3
	s_add_u32 s10, s3, s10
	v_readlane_b32 s3, v37, 1
	v_lshlrev_b64 v[8:9], 2, v[4:5]
	s_addc_u32 s11, s3, s11
	v_lshl_add_u64 v[6:7], s[10:11], 0, v[8:9]
	s_lshl_b64 s[10:11], s[8:9], 2
	s_add_u32 s10, s58, s10
	s_addc_u32 s11, s59, s11
	v_lshl_add_u64 v[8:9], s[10:11], 0, v[8:9]
	s_mov_b64 s[10:11], 0
	s_mov_b64 s[16:17], 0x400
.LBB0_185:                              ; =>This Inner Loop Header: Depth=1
	global_load_dword v1, v[6:7], off
	v_add_u32_e32 v4, 0x100, v4
	v_cmp_le_i32_e32 vcc, s38, v4
	v_lshl_add_u64 v[6:7], v[6:7], 0, s[16:17]
	s_or_b64 s[10:11], vcc, s[10:11]
	s_waitcnt vmcnt(0)
	v_mul_f32_e32 v1, v1, v1
	global_store_dword v[8:9], v1, off
	v_lshl_add_u64 v[8:9], v[8:9], 0, s[16:17]
	s_andn2_b64 exec, exec, s[10:11]
	s_cbranch_execnz .LBB0_185
.LBB0_186:
	s_or_b64 exec, exec, s[0:1]
	s_mul_i32 s0, s81, s2
	s_ashr_i32 s1, s0, 31
	s_lshl_b64 s[0:1], s[0:1], 2
	v_readlane_b32 s60, v37, 31
	v_readlane_b32 s61, v37, 32
	s_add_u32 s10, s60, s0
	s_addc_u32 s11, s61, s1
	v_cmp_gt_i32_e32 vcc, s81, v0
	v_readlane_b32 s62, v37, 33
	v_readlane_b32 s63, v37, 34
	;; [unrolled: 1-line block ×6, first 2 shown]
	s_barrier
	s_and_saveexec_b64 s[16:17], vcc
	s_cbranch_execz .LBB0_192
; %bb.187:
	s_cmp_gt_i32 s80, 0
	s_cselect_b64 s[0:1], -1, 0
	v_readlane_b32 s3, v37, 0
	v_readlane_b32 s18, v37, 2
	;; [unrolled: 1-line block ×3, first 2 shown]
	s_add_u32 s18, s3, s18
	v_readlane_b32 s3, v37, 1
	v_cndmask_b32_e64 v1, 0, 1, s[0:1]
	s_addc_u32 s19, s3, s19
	v_mul_lo_u32 v4, v0, s80
	s_lshl_b32 s3, s80, 8
	s_mov_b64 s[34:35], 0
	v_cmp_ne_u32_e64 s[0:1], 1, v1
	v_mov_b32_e32 v7, 0
	v_mov_b32_e32 v6, v0
	s_branch .LBB0_189
.LBB0_188:                              ;   in Loop: Header=BB0_189 Depth=1
	v_lshl_add_u64 v[8:9], v[6:7], 2, s[10:11]
	v_add_u32_e32 v6, 0x100, v6
	v_cmp_le_i32_e32 vcc, s81, v6
	s_or_b64 s[34:35], vcc, s[34:35]
	v_add_u32_e32 v4, s3, v4
	global_store_dword v[8:9], v1, off
	s_andn2_b64 exec, exec, s[34:35]
	s_cbranch_execz .LBB0_192
.LBB0_189:                              ; =>This Loop Header: Depth=1
                                        ;     Child Loop BB0_191 Depth 2
	s_and_b64 vcc, exec, s[0:1]
	v_mov_b32_e32 v1, 0
	s_cbranch_vccnz .LBB0_188
; %bb.190:                              ;   in Loop: Header=BB0_189 Depth=1
	v_mov_b32_e32 v5, v7
	v_lshl_add_u64 v[8:9], v[4:5], 2, s[18:19]
	v_mov_b32_e32 v1, 0
	s_mov_b32 s33, s80
.LBB0_191:                              ;   Parent Loop BB0_189 Depth=1
                                        ; =>  This Inner Loop Header: Depth=2
	global_load_dword v3, v[8:9], off
	s_add_i32 s33, s33, -1
	v_lshl_add_u64 v[8:9], v[8:9], 0, 4
	s_cmp_lg_u32 s33, 0
	s_waitcnt vmcnt(0)
	v_add_f32_e32 v1, v1, v3
	s_cbranch_scc1 .LBB0_191
	s_branch .LBB0_188
.LBB0_192:
	s_or_b64 exec, exec, s[16:17]
	s_mul_i32 s0, s36, s2
	s_ashr_i32 s1, s0, 31
	v_readlane_b32 s60, v37, 31
	s_lshl_b64 s[0:1], s[0:1], 2
	v_readlane_b32 s62, v37, 33
	v_readlane_b32 s63, v37, 34
	s_add_u32 s18, s62, s0
	s_addc_u32 s19, s63, s1
	v_cmp_gt_i32_e32 vcc, s36, v0
	v_readlane_b32 s61, v37, 32
	v_readlane_b32 s64, v37, 35
	;; [unrolled: 1-line block ×5, first 2 shown]
	s_barrier
	s_and_saveexec_b64 s[16:17], vcc
	s_cbranch_execz .LBB0_198
; %bb.193:
	s_cmp_gt_i32 s37, 0
	s_cselect_b64 s[0:1], -1, 0
	s_lshl_b64 s[8:9], s[8:9], 2
	v_mov_b32_e32 v5, 0
	s_add_u32 s8, s58, s8
	v_mov_b32_e32 v3, v5
	s_addc_u32 s9, s59, s9
	v_lshl_add_u64 v[6:7], s[8:9], 0, v[2:3]
	s_ashr_i32 s9, s36, 31
	s_mov_b32 s8, s36
	v_cndmask_b32_e64 v1, 0, 1, s[0:1]
	s_lshl_b64 s[8:9], s[8:9], 2
	s_mov_b64 s[34:35], 0
	v_cmp_ne_u32_e64 s[0:1], 1, v1
	s_mov_b64 s[38:39], 0x400
	v_mov_b32_e32 v4, v0
	s_branch .LBB0_195
.LBB0_194:                              ;   in Loop: Header=BB0_195 Depth=1
	v_lshl_add_u64 v[8:9], v[4:5], 2, s[18:19]
	v_add_u32_e32 v4, 0x100, v4
	v_cmp_le_i32_e32 vcc, s36, v4
	s_or_b64 s[34:35], vcc, s[34:35]
	v_lshl_add_u64 v[6:7], v[6:7], 0, s[38:39]
	global_store_dword v[8:9], v1, off
	s_andn2_b64 exec, exec, s[34:35]
	s_cbranch_execz .LBB0_198
.LBB0_195:                              ; =>This Loop Header: Depth=1
                                        ;     Child Loop BB0_197 Depth 2
	s_and_b64 vcc, exec, s[0:1]
	v_mov_b32_e32 v1, 0
	s_cbranch_vccnz .LBB0_194
; %bb.196:                              ;   in Loop: Header=BB0_195 Depth=1
	v_mov_b32_e32 v1, 0
	v_mov_b64_e32 v[8:9], v[6:7]
	s_mov_b32 s3, s37
.LBB0_197:                              ;   Parent Loop BB0_195 Depth=1
                                        ; =>  This Inner Loop Header: Depth=2
	global_load_dword v3, v[8:9], off
	s_add_i32 s3, s3, -1
	v_lshl_add_u64 v[8:9], v[8:9], 0, s[8:9]
	s_cmp_lg_u32 s3, 0
	s_waitcnt vmcnt(0)
	v_add_f32_e32 v1, v1, v3
	s_cbranch_scc1 .LBB0_197
	s_branch .LBB0_194
.LBB0_198:
	s_or_b64 exec, exec, s[16:17]
	s_ashr_i32 s3, s2, 31
	s_lshl_b64 s[34:35], s[2:3], 2
	v_readlane_b32 s44, v37, 27
	v_readlane_b32 s45, v37, 28
	s_add_u32 s16, s44, s34
	v_readlane_b32 s46, v37, 29
	s_addc_u32 s17, s45, s35
	v_readlane_b32 s47, v37, 30
	s_add_u32 s0, s46, s34
	s_addc_u32 s1, s47, s35
	v_cmp_eq_u32_e64 s[8:9], 0, v0
	v_cmp_ne_u32_e32 vcc, 0, v0
	s_barrier
	s_and_saveexec_b64 s[38:39], vcc
	v_readlane_b32 s54, v37, 43
	s_xor_b64 s[38:39], exec, s[38:39]
	v_readlane_b32 s48, v37, 20
	v_readlane_b32 s49, v37, 18
	;; [unrolled: 1-line block ×3, first 2 shown]
	s_cbranch_execz .LBB0_205
; %bb.199:
	v_cmp_eq_u32_e32 vcc, 1, v0
	s_and_saveexec_b64 s[44:45], vcc
	s_cbranch_execz .LBB0_204
; %bb.200:
	v_mov_b32_e32 v1, 0
	s_cmp_lt_i32 s37, 1
	global_store_dword v1, v1, s[0:1]
	s_cbranch_scc1 .LBB0_204
; %bb.201:
	v_mov_b32_e32 v3, 0
.LBB0_202:                              ; =>This Inner Loop Header: Depth=1
	global_load_dword v4, v1, s[18:19]
	s_add_i32 s37, s37, -1
	s_add_u32 s18, s18, 4
	s_addc_u32 s19, s19, 0
	s_cmp_eq_u32 s37, 0
	s_waitcnt vmcnt(0)
	v_add_f32_e32 v3, v3, v4
	s_cbranch_scc0 .LBB0_202
; %bb.203:
	v_mov_b32_e32 v1, 0
	global_store_dword v1, v3, s[0:1]
.LBB0_204:
	s_or_b64 exec, exec, s[44:45]
.LBB0_205:
	s_or_saveexec_b64 s[18:19], s[38:39]
	v_readlane_b32 s46, v37, 21
	v_readlane_b32 s47, v37, 22
	s_xor_b64 exec, exec, s[18:19]
	s_cbranch_execz .LBB0_210
; %bb.206:
	v_mov_b32_e32 v1, 0
	s_cmp_lt_i32 s81, 1
	global_store_dword v1, v1, s[16:17]
	s_cbranch_scc1 .LBB0_210
; %bb.207:
	s_mov_b32 s3, s81
	v_mov_b32_e32 v3, 0
.LBB0_208:                              ; =>This Inner Loop Header: Depth=1
	global_load_dword v4, v1, s[10:11]
	s_add_i32 s3, s3, -1
	s_add_u32 s10, s10, 4
	s_addc_u32 s11, s11, 0
	s_cmp_eq_u32 s3, 0
	s_waitcnt vmcnt(0)
	v_add_f32_e32 v3, v3, v4
	s_cbranch_scc0 .LBB0_208
; %bb.209:
	v_mov_b32_e32 v1, 0
	global_store_dword v1, v3, s[16:17]
.LBB0_210:
	s_or_b64 exec, exec, s[18:19]
	v_readlane_b32 s10, v37, 25
	v_readlane_b32 s11, v37, 26
	s_add_u32 s18, s10, s34
	s_addc_u32 s19, s11, s35
	s_barrier
	s_and_saveexec_b64 s[34:35], s[8:9]
	s_cbranch_execz .LBB0_212
; %bb.211:
	v_mov_b32_e32 v1, 0
	global_load_dword v3, v1, s[16:17]
	global_load_dword v4, v1, s[0:1]
	s_add_i32 s0, s82, -1
	v_cvt_f32_i32_e32 v5, s0
	s_mov_b32 s3, 0xf800000
	v_mov_b32_e32 v7, 0x260
	v_mul_f32_e32 v6, 0x4f800000, v5
	v_cmp_gt_f32_e64 s[0:1], s3, v5
	s_waitcnt vmcnt(0)
	v_div_scale_f32 v14, s[10:11], v13, v13, v4
	v_cndmask_b32_e64 v5, v5, v6, s[0:1]
	v_sqrt_f32_e32 v6, v5
	v_rcp_f32_e32 v16, v14
	v_add_u32_e32 v8, -1, v6
	v_fma_f32 v10, -v8, v6, v5
	v_add_u32_e32 v9, 1, v6
	v_cmp_ge_f32_e32 vcc, 0, v10
	v_fma_f32 v11, -v9, v6, v5
	v_fma_f32 v19, -v14, v16, 1.0
	v_cndmask_b32_e32 v6, v6, v8, vcc
	v_div_scale_f32 v8, s[10:11], v13, v13, v3
	v_rcp_f32_e32 v15, v8
	v_div_scale_f32 v10, vcc, v3, v13, v3
	v_div_scale_f32 v17, s[10:11], v4, v13, v4
	v_fma_f32 v18, -v8, v15, 1.0
	v_fmac_f32_e32 v15, v18, v15
	v_fmac_f32_e32 v16, v19, v16
	v_mul_f32_e32 v18, v10, v15
	v_mul_f32_e32 v19, v17, v16
	v_fma_f32 v20, -v8, v18, v10
	v_fma_f32 v21, -v14, v19, v17
	v_fmac_f32_e32 v18, v20, v15
	v_fmac_f32_e32 v19, v21, v16
	v_fma_f32 v8, -v8, v18, v10
	v_fma_f32 v10, -v14, v19, v17
	v_div_fmas_f32 v8, v8, v15, v18
	s_mov_b64 vcc, s[10:11]
	v_div_fixup_f32 v3, v8, v13, v3
	v_div_fmas_f32 v8, v10, v16, v19
	v_div_fixup_f32 v4, v8, v13, v4
	v_fma_f32 v3, -v3, v3, v4
	v_mul_f32_e32 v4, 0x4f800000, v3
	v_cmp_gt_f32_e32 vcc, s3, v3
	v_cmp_lt_f32_e64 s[10:11], 0, v11
	s_nop 0
	v_cndmask_b32_e32 v3, v3, v4, vcc
	v_sqrt_f32_e32 v4, v3
	v_cndmask_b32_e64 v6, v6, v9, s[10:11]
	v_mul_f32_e32 v8, 0x37800000, v6
	v_cndmask_b32_e64 v6, v6, v8, s[0:1]
	v_add_u32_e32 v8, -1, v4
	v_add_u32_e32 v9, 1, v4
	v_fma_f32 v10, -v8, v4, v3
	v_fma_f32 v11, -v9, v4, v3
	v_cmp_ge_f32_e64 s[0:1], 0, v10
	s_nop 1
	v_cndmask_b32_e64 v4, v4, v8, s[0:1]
	v_cmp_lt_f32_e64 s[0:1], 0, v11
	s_nop 1
	v_cndmask_b32_e64 v4, v4, v9, s[0:1]
	v_mul_f32_e32 v8, 0x37800000, v4
	v_cndmask_b32_e32 v4, v4, v8, vcc
	v_cmp_class_f32_e32 vcc, v3, v7
	s_nop 1
	v_cndmask_b32_e32 v3, v4, v3, vcc
	v_cmp_class_f32_e32 vcc, v5, v7
	s_nop 1
	v_cndmask_b32_e32 v4, v6, v5, vcc
	v_mul_f32_e32 v3, v4, v3
	global_store_dword v1, v3, s[18:19]
.LBB0_212:
	s_or_b64 exec, exec, s[34:35]
	s_barrier
	s_and_saveexec_b64 s[0:1], s[6:7]
	s_cbranch_execz .LBB0_220
; %bb.213:
	v_mov_b32_e32 v7, 0
	global_load_dword v4, v7, s[18:19]
	s_movk_i32 s3, 0xff
	v_cmp_lt_u32_e32 vcc, s3, v12
	s_mov_b64 s[18:19], -1
	v_mov_b32_e32 v6, v0
	s_and_saveexec_b64 s[10:11], vcc
	s_cbranch_execz .LBB0_217
; %bb.214:
	v_lshrrev_b32_e32 v1, 8, v12
	v_add_u32_e32 v3, 1, v1
	v_and_b32_e32 v10, 0x1fffffe, v3
	v_add_u32_e32 v1, 0x100, v0
	s_waitcnt vmcnt(0)
	v_mov_b32_e32 v5, v4
	s_mov_b64 s[18:19], 0
	v_mov_b32_e32 v11, v10
	v_mov_b64_e32 v[8:9], v[0:1]
.LBB0_215:                              ; =>This Inner Loop Header: Depth=1
	v_mov_b32_e32 v6, v8
	v_lshl_add_u64 v[14:15], v[6:7], 2, s[12:13]
	v_mov_b32_e32 v6, v9
	v_lshl_add_u64 v[16:17], v[6:7], 2, s[12:13]
	global_load_dword v18, v[14:15], off
	global_load_dword v19, v[16:17], off
	v_add_u32_e32 v11, -2, v11
	v_cmp_eq_u32_e32 vcc, 0, v11
	v_add_u32_e32 v8, 0x200, v8
	v_add_u32_e32 v9, 0x200, v9
	s_or_b64 s[18:19], vcc, s[18:19]
	s_waitcnt vmcnt(0)
	v_pk_mul_f32 v[18:19], v[18:19], v[4:5]
	global_store_dword v[14:15], v18, off
	global_store_dword v[16:17], v19, off
	s_andn2_b64 exec, exec, s[18:19]
	s_cbranch_execnz .LBB0_215
; %bb.216:
	s_or_b64 exec, exec, s[18:19]
	v_cmp_ne_u32_e32 vcc, v3, v10
	v_lshl_add_u32 v6, v10, 8, v0
	s_orn2_b64 s[18:19], vcc, exec
.LBB0_217:
	s_or_b64 exec, exec, s[10:11]
	s_and_b64 exec, exec, s[18:19]
	s_cbranch_execz .LBB0_220
; %bb.218:
	s_add_u32 s10, s56, s14
	v_mov_b32_e32 v7, 0
	s_addc_u32 s11, s57, s15
	v_lshl_add_u64 v[8:9], v[6:7], 2, s[10:11]
	s_mov_b64 s[10:11], 0
	s_mov_b64 s[18:19], 0x400
.LBB0_219:                              ; =>This Inner Loop Header: Depth=1
	global_load_dword v1, v[8:9], off
	v_add_u32_e32 v6, 0x100, v6
	v_cmp_le_i32_e32 vcc, s43, v6
	s_or_b64 s[10:11], vcc, s[10:11]
	s_waitcnt vmcnt(0)
	v_mul_f32_e32 v1, v1, v4
	global_store_dword v[8:9], v1, off
	v_lshl_add_u64 v[8:9], v[8:9], 0, s[18:19]
	s_andn2_b64 exec, exec, s[10:11]
	s_cbranch_execnz .LBB0_219
.LBB0_220:
	s_or_b64 exec, exec, s[0:1]
	s_barrier
	s_mov_b64 s[10:11], exec
	v_readlane_b32 s0, v37, 47
	v_readlane_b32 s1, v37, 48
	s_and_b64 s[0:1], s[10:11], s[0:1]
	s_mov_b64 exec, s[0:1]
	s_cbranch_execz .LBB0_228
; %bb.221:
	v_mov_b32_e32 v7, 0
	global_load_dword v4, v7, s[16:17]
	v_xad_u32 v1, v0, -1, s31
	s_movk_i32 s0, 0xff
	v_cmp_lt_u32_e32 vcc, s0, v1
	s_mov_b64 s[0:1], -1
	v_mov_b32_e32 v6, v0
	s_and_saveexec_b64 s[16:17], vcc
	s_cbranch_execz .LBB0_225
; %bb.222:
	v_lshrrev_b32_e32 v1, 8, v1
	v_add_u32_e32 v3, 1, v1
	v_and_b32_e32 v10, 0x1fffffe, v3
	v_add_u32_e32 v1, 0x100, v0
	s_waitcnt vmcnt(0)
	v_mov_b32_e32 v5, v4
	s_mov_b64 s[18:19], 0
	v_mov_b32_e32 v11, v10
	v_mov_b64_e32 v[8:9], v[0:1]
.LBB0_223:                              ; =>This Inner Loop Header: Depth=1
	v_mov_b32_e32 v6, v8
	v_lshlrev_b64 v[14:15], 2, v[6:7]
	v_mov_b32_e32 v6, v9
	v_lshlrev_b64 v[16:17], 2, v[6:7]
	v_lshl_add_u64 v[18:19], s[26:27], 0, v[14:15]
	v_lshl_add_u64 v[20:21], s[26:27], 0, v[16:17]
	global_load_dword v18, v[18:19], off
	s_nop 0
	global_load_dword v19, v[20:21], off
	v_lshl_add_u64 v[14:15], s[88:89], 0, v[14:15]
	v_lshl_add_u64 v[16:17], s[88:89], 0, v[16:17]
	global_load_dword v20, v[14:15], off
	global_load_dword v21, v[16:17], off
	v_add_u32_e32 v11, -2, v11
	v_cmp_eq_u32_e32 vcc, 0, v11
	s_or_b64 s[18:19], vcc, s[18:19]
	v_add_u32_e32 v8, 0x200, v8
	v_add_u32_e32 v9, 0x200, v9
	s_waitcnt vmcnt(2)
	v_pk_mul_f32 v[18:19], v[18:19], v[4:5]
	s_nop 0
	v_div_scale_f32 v1, s[0:1], v13, v13, v19
	v_div_scale_f32 v22, s[0:1], v13, v13, v18
	v_rcp_f32_e32 v24, v1
	v_rcp_f32_e32 v25, v22
	v_div_scale_f32 v6, vcc, v19, v13, v19
	v_fma_f32 v26, -v1, v24, 1.0
	v_fma_f32 v27, -v22, v25, 1.0
	v_fmac_f32_e32 v24, v26, v24
	v_div_scale_f32 v23, s[0:1], v18, v13, v18
	v_fmac_f32_e32 v25, v27, v25
	v_mul_f32_e32 v26, v6, v24
	v_mul_f32_e32 v27, v23, v25
	v_fma_f32 v28, -v1, v26, v6
	v_fma_f32 v29, -v22, v27, v23
	v_fmac_f32_e32 v26, v28, v24
	v_fmac_f32_e32 v27, v29, v25
	v_fma_f32 v1, -v1, v26, v6
	v_fma_f32 v6, -v22, v27, v23
	v_div_fmas_f32 v1, v1, v24, v26
	s_mov_b64 vcc, s[0:1]
	v_div_fixup_f32 v19, v1, v13, v19
	v_div_fmas_f32 v1, v6, v25, v27
	v_div_fixup_f32 v18, v1, v13, v18
	s_waitcnt vmcnt(0)
	v_pk_add_f32 v[18:19], v[20:21], v[18:19] neg_lo:[0,1] neg_hi:[0,1]
	global_store_dword v[14:15], v18, off
	global_store_dword v[16:17], v19, off
	s_andn2_b64 exec, exec, s[18:19]
	s_cbranch_execnz .LBB0_223
; %bb.224:
	s_or_b64 exec, exec, s[18:19]
	v_cmp_ne_u32_e32 vcc, v3, v10
	v_lshl_add_u32 v6, v10, 8, v0
	s_orn2_b64 s[0:1], vcc, exec
.LBB0_225:
	s_or_b64 exec, exec, s[16:17]
	s_and_b64 exec, exec, s[0:1]
	s_cbranch_execz .LBB0_228
; %bb.226:
	v_readlane_b32 s16, v37, 8
	v_readlane_b32 s18, v37, 10
	;; [unrolled: 1-line block ×3, first 2 shown]
	v_mov_b32_e32 v7, 0
	v_readlane_b32 s19, v37, 11
	v_readlane_b32 s1, v37, 46
	s_add_u32 s0, s18, s0
	v_lshlrev_b64 v[10:11], 2, v[6:7]
	s_addc_u32 s1, s19, s1
	v_lshl_add_u64 v[8:9], s[0:1], 0, v[10:11]
	v_readlane_b32 s0, v36, 6
	v_readlane_b32 s1, v36, 7
	s_add_u32 s0, s52, s0
	v_readlane_b32 s17, v37, 9
	s_addc_u32 s1, s53, s1
	v_lshl_add_u64 v[10:11], s[0:1], 0, v[10:11]
	s_mov_b64 s[0:1], 0
	s_mov_b64 s[16:17], 0x400
.LBB0_227:                              ; =>This Inner Loop Header: Depth=1
	global_load_dword v1, v[10:11], off
	global_load_dword v3, v[8:9], off
	v_add_u32_e32 v6, 0x100, v6
	v_cmp_le_i32_e32 vcc, s31, v6
	s_or_b64 s[0:1], vcc, s[0:1]
	v_lshl_add_u64 v[10:11], v[10:11], 0, s[16:17]
	s_waitcnt vmcnt(1)
	v_mul_f32_e32 v1, v1, v4
	v_div_scale_f32 v5, s[18:19], v13, v13, v1
	v_rcp_f32_e32 v7, v5
	v_div_scale_f32 v14, vcc, v1, v13, v1
	v_fma_f32 v15, -v5, v7, 1.0
	v_fmac_f32_e32 v7, v15, v7
	v_mul_f32_e32 v15, v14, v7
	v_fma_f32 v16, -v5, v15, v14
	v_fmac_f32_e32 v15, v16, v7
	v_fma_f32 v5, -v5, v15, v14
	v_div_fmas_f32 v5, v5, v7, v15
	v_div_fixup_f32 v1, v5, v13, v1
	s_waitcnt vmcnt(0)
	v_sub_f32_e32 v1, v3, v1
	global_store_dword v[8:9], v1, off
	v_lshl_add_u64 v[8:9], v[8:9], 0, s[16:17]
	s_andn2_b64 exec, exec, s[0:1]
	s_cbranch_execnz .LBB0_227
.LBB0_228:
	s_or_b64 exec, exec, s[10:11]
	s_barrier
	s_and_saveexec_b64 s[10:11], s[6:7]
	s_cbranch_execz .LBB0_236
; %bb.229:
	s_movk_i32 s0, 0xff
	v_cmp_lt_u32_e32 vcc, s0, v12
	s_mov_b64 s[0:1], -1
	s_waitcnt vmcnt(0)
	v_mov_b32_e32 v4, v0
	s_and_saveexec_b64 s[6:7], vcc
	s_cbranch_execz .LBB0_233
; %bb.230:
	v_lshrrev_b32_e32 v1, 8, v12
	v_add_u32_e32 v3, 1, v1
	v_and_b32_e32 v8, 0x1fffffe, v3
	v_add_u32_e32 v1, 0x100, v0
	s_mov_b64 s[16:17], 0
	v_mov_b32_e32 v5, 0
	v_mov_b32_e32 v9, v8
	v_mov_b64_e32 v[6:7], v[0:1]
.LBB0_231:                              ; =>This Inner Loop Header: Depth=1
	v_mov_b32_e32 v4, v6
	v_lshlrev_b64 v[10:11], 2, v[4:5]
	v_mov_b32_e32 v4, v7
	v_lshl_add_u64 v[12:13], s[88:89], 0, v[10:11]
	v_lshlrev_b64 v[14:15], 2, v[4:5]
	v_lshl_add_u64 v[10:11], s[12:13], 0, v[10:11]
	global_load_dword v1, v[12:13], off
	global_load_dword v4, v[10:11], off
	v_lshl_add_u64 v[12:13], s[88:89], 0, v[14:15]
	v_lshl_add_u64 v[14:15], s[12:13], 0, v[14:15]
	global_load_dword v12, v[12:13], off
	s_nop 0
	global_load_dword v13, v[14:15], off
	v_add_u32_e32 v9, -2, v9
	v_cmp_eq_u32_e32 vcc, 0, v9
	s_or_b64 s[16:17], vcc, s[16:17]
	v_add_u32_e32 v6, 0x200, v6
	v_add_u32_e32 v7, 0x200, v7
	s_waitcnt vmcnt(2)
	v_div_scale_f32 v16, s[0:1], v4, v4, v1
	v_rcp_f32_e32 v20, v16
	s_waitcnt vmcnt(0)
	v_div_scale_f32 v18, s[18:19], v13, v13, v12
	v_rcp_f32_e32 v21, v18
	v_fma_f32 v22, -v16, v20, 1.0
	v_div_scale_f32 v17, s[0:1], v1, v4, v1
	v_fma_f32 v23, -v18, v21, 1.0
	v_div_scale_f32 v19, vcc, v12, v13, v12
	v_fmac_f32_e32 v20, v22, v20
	v_fmac_f32_e32 v21, v23, v21
	v_mul_f32_e32 v22, v17, v20
	v_mul_f32_e32 v23, v19, v21
	v_fma_f32 v24, -v16, v22, v17
	v_fma_f32 v25, -v18, v23, v19
	v_fmac_f32_e32 v22, v24, v20
	v_fmac_f32_e32 v23, v25, v21
	v_fma_f32 v16, -v16, v22, v17
	v_fma_f32 v17, -v18, v23, v19
	v_div_fmas_f32 v17, v17, v21, v23
	s_mov_b64 vcc, s[0:1]
	v_div_fixup_f32 v12, v17, v13, v12
	v_div_fmas_f32 v13, v16, v20, v22
	v_div_fixup_f32 v1, v13, v4, v1
	global_store_dword v[10:11], v1, off
	global_store_dword v[14:15], v12, off
	s_andn2_b64 exec, exec, s[16:17]
	s_cbranch_execnz .LBB0_231
; %bb.232:
	s_or_b64 exec, exec, s[16:17]
	v_cmp_ne_u32_e32 vcc, v3, v8
	v_lshl_add_u32 v4, v8, 8, v0
	s_orn2_b64 s[0:1], vcc, exec
.LBB0_233:
	s_or_b64 exec, exec, s[6:7]
	s_and_b64 exec, exec, s[0:1]
	s_cbranch_execz .LBB0_236
; %bb.234:
	v_readlane_b32 s16, v37, 8
	v_readlane_b32 s18, v37, 10
	;; [unrolled: 1-line block ×3, first 2 shown]
	s_mov_b64 s[6:7], s[18:19]
	v_readlane_b32 s0, v37, 45
	v_mov_b32_e32 v5, 0
	v_readlane_b32 s1, v37, 46
	s_add_u32 s0, s6, s0
	v_lshlrev_b64 v[8:9], 2, v[4:5]
	s_addc_u32 s1, s7, s1
	v_lshl_add_u64 v[6:7], s[0:1], 0, v[8:9]
	s_add_u32 s0, s56, s14
	s_addc_u32 s1, s57, s15
	v_lshl_add_u64 v[8:9], s[0:1], 0, v[8:9]
	s_mov_b64 s[0:1], 0
	s_mov_b64 s[6:7], 0x400
	v_readlane_b32 s17, v37, 9
.LBB0_235:                              ; =>This Inner Loop Header: Depth=1
	global_load_dword v1, v[6:7], off
	global_load_dword v3, v[8:9], off
	v_add_u32_e32 v4, 0x100, v4
	v_cmp_le_i32_e32 vcc, s43, v4
	s_or_b64 s[0:1], vcc, s[0:1]
	v_lshl_add_u64 v[6:7], v[6:7], 0, s[6:7]
	s_waitcnt vmcnt(0)
	v_div_scale_f32 v5, s[14:15], v3, v3, v1
	v_rcp_f32_e32 v10, v5
	v_div_scale_f32 v11, vcc, v1, v3, v1
	v_fma_f32 v12, -v5, v10, 1.0
	v_fmac_f32_e32 v10, v12, v10
	v_mul_f32_e32 v12, v11, v10
	v_fma_f32 v13, -v5, v12, v11
	v_fmac_f32_e32 v12, v13, v10
	v_fma_f32 v5, -v5, v12, v11
	v_div_fmas_f32 v5, v5, v10, v12
	v_div_fixup_f32 v1, v5, v3, v1
	global_store_dword v[8:9], v1, off
	v_lshl_add_u64 v[8:9], v[8:9], 0, s[6:7]
	s_andn2_b64 exec, exec, s[0:1]
	s_cbranch_execnz .LBB0_235
.LBB0_236:
	s_or_b64 exec, exec, s[10:11]
	s_mul_i32 s0, s42, s2
	s_mul_i32 s3, s46, s77
	v_readlane_b32 s6, v37, 4
	s_ashr_i32 s1, s0, 31
	s_add_i32 s6, s3, s6
	v_cmp_gt_i32_e32 vcc, s42, v0
	s_barrier
	s_and_saveexec_b64 s[10:11], vcc
	s_cbranch_execz .LBB0_243
; %bb.237:
	s_lshl_b64 s[14:15], s[0:1], 2
	v_readlane_b32 s16, v37, 39
	v_readlane_b32 s17, v37, 40
	s_add_u32 s16, s16, s14
	s_addc_u32 s17, s17, s15
	s_ashr_i32 s7, s6, 31
	s_lshl_b64 s[14:15], s[6:7], 2
	s_add_u32 s3, s20, s14
	v_readlane_b32 s18, v37, 41
	s_addc_u32 s7, s48, s15
	v_readlane_b32 s19, v37, 42
	s_add_u32 s18, s3, -4
	s_addc_u32 s19, s7, -1
	s_load_dword s3, s[18:19], 0x0
	v_readlane_b32 s18, v37, 14
	v_readlane_b32 s19, v37, 15
	s_load_dword s7, s[18:19], 0x0
	v_readlane_b32 s18, v37, 6
	v_readlane_b32 s19, v37, 7
	s_add_i32 s18, s18, s19
	s_add_i32 s19, s18, 1
	s_waitcnt lgkmcnt(0)
	s_add_i32 s3, s3, s19
	s_not_b32 s7, s7
	s_add_i32 s3, s3, s7
	s_add_u32 s7, s49, s14
	s_addc_u32 s15, s50, s15
	v_readlane_b32 s26, v37, 12
	s_add_u32 s14, s7, -4
	v_readlane_b32 s27, v37, 13
	s_addc_u32 s15, s15, -1
	s_load_dword s7, s[26:27], 0x0
	s_nop 0
	s_load_dword s26, s[14:15], 0x0
	s_mul_i32 s3, s3, s40
	v_mov_b32_e32 v3, 0
	s_waitcnt vmcnt(0)
	v_lshl_add_u64 v[4:5], s[16:17], 0, v[2:3]
	s_waitcnt lgkmcnt(0)
	s_not_b32 s14, s7
	s_add_i32 s15, s26, s19
	s_add_i32 s14, s15, s14
	;; [unrolled: 1-line block ×3, first 2 shown]
	s_mov_b32 s15, 0
	s_lshl_b64 s[14:15], s[14:15], 2
	s_add_u32 s14, s16, s14
	s_addc_u32 s15, s17, s15
	s_add_i32 s16, s18, s26
	s_add_i32 s16, s16, s3
	v_sub_u32_e32 v1, s16, v0
	v_subrev_u32_e32 v1, s7, v1
	s_mov_b64 s[16:17], 0
	v_mov_b32_e32 v2, 1.0
	s_mov_b64 s[18:19], 0x400
	v_mov_b32_e32 v6, v0
	s_branch .LBB0_239
.LBB0_238:                              ;   in Loop: Header=BB0_239 Depth=1
	s_or_b64 exec, exec, s[26:27]
	v_add_u32_e32 v6, 0x100, v6
	v_cmp_le_i32_e32 vcc, s42, v6
	v_lshl_add_u64 v[4:5], v[4:5], 0, s[18:19]
	s_or_b64 s[16:17], vcc, s[16:17]
	v_add_u32_e32 v1, 0xffffff00, v1
	s_andn2_b64 exec, exec, s[16:17]
	s_cbranch_execz .LBB0_243
.LBB0_239:                              ; =>This Inner Loop Header: Depth=1
	v_cmp_ne_u32_e32 vcc, 0, v1
	s_and_saveexec_b64 s[26:27], vcc
	s_xor_b64 s[26:27], exec, s[26:27]
	s_cbranch_execz .LBB0_241
; %bb.240:                              ;   in Loop: Header=BB0_239 Depth=1
	global_store_dword v[4:5], v3, off
.LBB0_241:                              ;   in Loop: Header=BB0_239 Depth=1
	s_andn2_saveexec_b64 s[26:27], s[26:27]
	s_cbranch_execz .LBB0_238
; %bb.242:                              ;   in Loop: Header=BB0_239 Depth=1
	global_store_dword v3, v2, s[14:15]
	s_branch .LBB0_238
.LBB0_243:
	s_or_b64 exec, exec, s[10:11]
	s_mul_i32 s10, s30, s2
	s_ashr_i32 s11, s10, 31
	v_cmp_gt_i32_e32 vcc, s30, v0
	s_barrier
	s_and_saveexec_b64 s[14:15], vcc
	s_cbranch_execz .LBB0_254
; %bb.244:
	v_readlane_b32 s36, v37, 39
	s_lshl_b64 s[16:17], s[10:11], 2
	v_readlane_b32 s38, v37, 41
	v_readlane_b32 s39, v37, 42
	s_add_u32 s16, s38, s16
	s_addc_u32 s17, s39, s17
	s_abs_i32 s3, s28
	v_cvt_f32_u32_e32 v1, s3
	s_ashr_i32 s7, s28, 31
	s_sub_i32 s31, 0, s4
	s_lshl_b64 s[0:1], s[0:1], 2
	v_rcp_iflag_f32_e32 v1, v1
	s_sub_i32 s19, 0, s3
	v_readlane_b32 s37, v37, 40
	s_add_u32 s0, s36, s0
	v_mul_f32_e32 v1, 0x4f7ffffe, v1
	v_cvt_u32_f32_e32 v1, v1
	s_addc_u32 s1, s37, s1
	s_add_u32 s18, s0, -4
	v_mov_b32_e32 v3, 0
	v_mul_lo_u32 v2, s19, v1
	v_mul_hi_u32 v2, v1, v2
	v_add_u32_e32 v1, v1, v2
	s_addc_u32 s19, s1, -1
	s_sub_i32 s33, 1, s4
	s_sub_i32 s44, 0, s5
	s_mov_b64 s[26:27], 0
	v_mov_b32_e32 v8, s55
	v_mov_b32_e32 v9, s28
	;; [unrolled: 1-line block ×3, first 2 shown]
	s_branch .LBB0_247
.LBB0_245:                              ;   in Loop: Header=BB0_247 Depth=1
	s_or_b64 exec, exec, s[36:37]
.LBB0_246:                              ;   in Loop: Header=BB0_247 Depth=1
	s_or_b64 exec, exec, s[34:35]
	v_lshlrev_b64 v[4:5], 2, v[2:3]
	v_lshl_add_u64 v[6:7], s[12:13], 0, v[4:5]
	global_load_dword v6, v[6:7], off
	v_add_u32_e32 v2, 0x100, v2
	v_cmp_le_i32_e32 vcc, s30, v2
	v_lshl_add_u64 v[4:5], s[16:17], 0, v[4:5]
	s_or_b64 s[26:27], vcc, s[26:27]
	s_waitcnt vmcnt(0)
	v_mul_f32_e32 v6, v10, v6
	global_store_dword v[4:5], v6, off
	s_andn2_b64 exec, exec, s[26:27]
	s_cbranch_execz .LBB0_254
.LBB0_247:                              ; =>This Loop Header: Depth=1
                                        ;     Child Loop BB0_250 Depth 2
                                        ;       Child Loop BB0_252 Depth 3
	s_waitcnt vmcnt(0)
	v_add_u32_e32 v4, 1, v2
	v_not_b32_e32 v6, v2
	v_max_i32_e32 v6, v4, v6
	v_mul_hi_u32 v7, v6, v1
	v_mul_lo_u32 v10, v7, s3
	v_sub_u32_e32 v6, v6, v10
	v_add_u32_e32 v10, 1, v7
	v_cmp_le_u32_e32 vcc, s3, v6
	v_ashrrev_i32_e32 v5, 31, v4
	v_xor_b32_e32 v5, s7, v5
	v_cndmask_b32_e32 v7, v7, v10, vcc
	v_subrev_u32_e32 v10, s3, v6
	v_cndmask_b32_e32 v6, v6, v10, vcc
	v_add_u32_e32 v10, 1, v7
	v_cmp_le_u32_e32 vcc, s3, v6
	s_nop 1
	v_cndmask_b32_e32 v6, v7, v10, vcc
	v_xor_b32_e32 v6, v6, v5
	v_sub_u32_e32 v6, v6, v5
	v_mul_lo_u32 v5, v6, s28
	v_sub_u32_e32 v5, v4, v5
	v_cmp_ne_u32_e32 vcc, 0, v5
	v_mov_b32_e32 v10, 0
	s_nop 0
	v_addc_co_u32_e64 v4, s[0:1], v6, v8, vcc
	v_subrev_u32_e32 v6, s5, v4
	v_add_u32_e32 v6, 1, v6
	v_cmp_le_i32_e64 s[0:1], s5, v4
	v_min_i32_e32 v11, s41, v4
	s_nop 0
	v_cndmask_b32_e64 v12, 1, v6, s[0:1]
	v_cmp_le_i32_e64 s[0:1], v12, v11
	s_and_saveexec_b64 s[34:35], s[0:1]
	s_cbranch_execz .LBB0_246
; %bb.248:                              ;   in Loop: Header=BB0_247 Depth=1
	v_cndmask_b32_e32 v5, v9, v5, vcc
	v_add_u32_e32 v5, s54, v5
	v_subrev_u32_e32 v6, s4, v5
	v_max_i32_e32 v4, s5, v4
	v_add_u32_e32 v6, 1, v6
	v_cmp_le_i32_e32 vcc, s4, v5
	v_add_u32_e32 v4, s44, v4
	v_min_i32_e32 v13, s40, v5
	v_cndmask_b32_e32 v6, 1, v6, vcc
	v_max_i32_e32 v5, s4, v5
	v_mul_lo_u32 v4, s40, v4
	v_cmp_le_i32_e32 vcc, v6, v13
	v_add_u32_e32 v14, s31, v5
	v_add3_u32 v4, s33, v5, v4
	v_mov_b32_e32 v10, 0
	s_mov_b64 s[36:37], 0
	s_branch .LBB0_250
.LBB0_249:                              ;   in Loop: Header=BB0_250 Depth=2
	s_or_b64 exec, exec, s[38:39]
	v_add_u32_e32 v5, 1, v12
	v_cmp_ge_i32_e64 s[0:1], v12, v11
	v_add_u32_e32 v4, s40, v4
	s_or_b64 s[36:37], s[0:1], s[36:37]
	v_mov_b32_e32 v12, v5
	s_andn2_b64 exec, exec, s[36:37]
	s_cbranch_execz .LBB0_245
.LBB0_250:                              ;   Parent Loop BB0_247 Depth=1
                                        ; =>  This Loop Header: Depth=2
                                        ;       Child Loop BB0_252 Depth 3
	s_and_saveexec_b64 s[38:39], vcc
	s_cbranch_execz .LBB0_249
; %bb.251:                              ;   in Loop: Header=BB0_250 Depth=2
	v_ashrrev_i32_e32 v5, 31, v4
	v_lshl_add_u64 v[6:7], v[4:5], 2, s[18:19]
	s_mov_b64 s[42:43], 0
	v_mov_b32_e32 v5, v14
.LBB0_252:                              ;   Parent Loop BB0_247 Depth=1
                                        ;     Parent Loop BB0_250 Depth=2
                                        ; =>    This Inner Loop Header: Depth=3
	global_load_dword v15, v[6:7], off
	v_add_u32_e32 v5, 1, v5
	v_cmp_ge_i32_e64 s[0:1], v5, v13
	v_lshl_add_u64 v[6:7], v[6:7], 0, 4
	s_or_b64 s[42:43], s[0:1], s[42:43]
	s_waitcnt vmcnt(0)
	v_add_f32_e32 v10, v10, v15
	s_andn2_b64 exec, exec, s[42:43]
	s_cbranch_execnz .LBB0_252
; %bb.253:                              ;   in Loop: Header=BB0_250 Depth=2
	s_or_b64 exec, exec, s[42:43]
	s_branch .LBB0_249
.LBB0_254:
	s_or_b64 exec, exec, s[14:15]
	s_mul_i32 s0, s28, s2
	v_readlane_b32 s12, v37, 31
	s_ashr_i32 s1, s0, 31
	v_readlane_b32 s13, v37, 32
	v_readlane_b32 s14, v37, 33
	;; [unrolled: 1-line block ×5, first 2 shown]
	s_lshl_b64 s[0:1], s[0:1], 2
	v_readlane_b32 s18, v37, 37
	v_readlane_b32 s19, v37, 38
	s_mov_b64 s[12:13], s[16:17]
	s_add_u32 s2, s12, s0
	s_mov_b64 s[14:15], s[18:19]
	s_addc_u32 s3, s13, s1
	s_add_u32 s4, s14, s0
	s_addc_u32 s5, s15, s1
	v_cmp_gt_i32_e32 vcc, s28, v0
	s_barrier
	s_and_saveexec_b64 s[12:13], vcc
	v_readlane_b32 s44, v37, 24
	v_readlane_b32 s33, v37, 23
	s_cbranch_execz .LBB0_260
; %bb.255:
	v_readlane_b32 s16, v37, 39
	s_cmp_gt_i32 s29, 0
	v_readlane_b32 s18, v37, 41
	v_readlane_b32 s19, v37, 42
	s_cselect_b64 s[0:1], -1, 0
	s_lshl_b32 s7, s28, 8
	s_lshl_b64 s[10:11], s[10:11], 2
	s_mov_b64 s[14:15], s[18:19]
	s_add_u32 s10, s14, s10
	v_mov_b32_e32 v5, 0
	v_cndmask_b32_e64 v3, 0, 1, s[0:1]
	v_mul_lo_u32 v2, v0, s28
	s_addc_u32 s11, s15, s11
	v_mov_b32_e32 v1, 0
	s_mov_b64 s[14:15], 0
	v_cmp_ne_u32_e64 s[0:1], 1, v3
	s_waitcnt vmcnt(0)
	v_mov_b32_e32 v4, v0
	v_mov_b32_e32 v8, v5
	v_readlane_b32 s17, v37, 40
	s_branch .LBB0_257
.LBB0_256:                              ;   in Loop: Header=BB0_257 Depth=1
	v_cvt_f32_i32_e32 v3, v1
	v_lshlrev_b64 v[6:7], 2, v[4:5]
	v_add_u32_e32 v4, 0x100, v4
	v_cmp_le_i32_e32 vcc, s28, v4
	v_lshl_add_u64 v[10:11], s[4:5], 0, v[6:7]
	s_or_b64 s[14:15], vcc, s[14:15]
	v_add_u32_e32 v2, s7, v2
	v_lshl_add_u64 v[6:7], s[2:3], 0, v[6:7]
	global_store_dword v[10:11], v3, off
	global_store_dword v[6:7], v8, off
	s_andn2_b64 exec, exec, s[14:15]
	s_cbranch_execz .LBB0_260
.LBB0_257:                              ; =>This Loop Header: Depth=1
                                        ;     Child Loop BB0_259 Depth 2
	s_and_b64 vcc, exec, s[0:1]
	s_cbranch_vccnz .LBB0_256
; %bb.258:                              ;   in Loop: Header=BB0_257 Depth=1
	v_ashrrev_i32_e32 v3, 31, v2
	v_lshl_add_u64 v[6:7], v[2:3], 2, s[10:11]
	v_mov_b32_e32 v3, v2
	s_mov_b32 s16, s29
.LBB0_259:                              ;   Parent Loop BB0_257 Depth=1
                                        ; =>  This Inner Loop Header: Depth=2
	global_load_dword v9, v[6:7], off
	s_add_i32 s16, s16, -1
	v_lshl_add_u64 v[6:7], v[6:7], 0, 4
	s_cmp_lg_u32 s16, 0
	s_waitcnt vmcnt(0)
	v_cmp_gt_f32_e64 vcc, |v9|, v8
	s_nop 1
	v_cndmask_b32_e32 v1, v1, v3, vcc
	v_add_u32_e32 v3, 1, v3
	v_cndmask_b32_e64 v8, v8, |v9|, vcc
	s_cbranch_scc1 .LBB0_259
	s_branch .LBB0_256
.LBB0_260:
	s_or_b64 exec, exec, s[12:13]
	s_barrier
	s_and_saveexec_b64 s[0:1], s[8:9]
	s_cbranch_execz .LBB0_269
; %bb.261:
	s_cmp_lt_i32 s28, 1
	s_mov_b32 s7, 1
	s_cbranch_scc1 .LBB0_268
; %bb.262:
	s_mov_b32 s7, 0
	v_mov_b32_e32 v1, 0
	s_mov_b32 s8, s28
	v_mov_b32_e32 v2, 0
	s_branch .LBB0_264
.LBB0_263:                              ;   in Loop: Header=BB0_264 Depth=1
	s_add_i32 s8, s8, -1
	s_add_u32 s2, s2, 4
	s_addc_u32 s3, s3, 0
	s_add_u32 s4, s4, 4
	s_addc_u32 s5, s5, 0
	s_cmp_lg_u32 s8, 0
	s_cbranch_scc0 .LBB0_267
.LBB0_264:                              ; =>This Inner Loop Header: Depth=1
	global_load_dword v3, v1, s[2:3]
	s_waitcnt vmcnt(0)
	v_cmp_ngt_f32_e32 vcc, v3, v2
	s_cbranch_vccnz .LBB0_263
; %bb.265:                              ;   in Loop: Header=BB0_264 Depth=1
	global_load_dword v2, v1, s[4:5]
	s_waitcnt vmcnt(0)
	v_cvt_i32_f32_e32 v2, v2
	s_nop 0
	v_readfirstlane_b32 s7, v2
	v_mov_b32_e32 v2, v3
	s_branch .LBB0_263
.LBB0_266:
	s_mov_b64 s[0:1], 0
	s_cbranch_execz .LBB0_271
	s_branch .LBB0_284
.LBB0_267:
	s_add_i32 s7, s7, 1
.LBB0_268:
	s_abs_i32 s2, s28
	v_cvt_f32_u32_e32 v1, s2
	v_readlane_b32 s8, v37, 12
	v_readlane_b32 s9, v37, 13
	s_load_dword s8, s[8:9], 0x0
	v_rcp_iflag_f32_e32 v1, v1
	s_sub_i32 s5, 0, s2
	s_abs_i32 s4, s7
	s_xor_b32 s3, s7, s28
	v_mul_f32_e32 v1, 0x4f7ffffe, v1
	v_cvt_u32_f32_e32 v1, v1
	s_ashr_i32 s3, s3, 31
	v_readlane_b32 s12, v37, 6
	v_readlane_b32 s13, v37, 7
	v_readfirstlane_b32 s9, v1
	s_mul_i32 s5, s5, s9
	s_mul_hi_u32 s5, s9, s5
	s_add_i32 s9, s9, s5
	s_mul_hi_u32 s5, s4, s9
	s_mul_i32 s9, s5, s2
	s_sub_i32 s4, s4, s9
	s_add_i32 s10, s5, 1
	s_sub_i32 s9, s4, s2
	s_cmp_ge_u32 s4, s2
	s_cselect_b32 s5, s10, s5
	s_cselect_b32 s4, s9, s4
	s_add_i32 s9, s5, 1
	s_cmp_ge_u32 s4, s2
	s_cselect_b32 s2, s9, s5
	s_xor_b32 s2, s2, s3
	s_sub_i32 s10, s2, s3
	s_mul_i32 s2, s10, s28
	s_sub_i32 s7, s7, s2
	s_cmp_eq_u32 s7, 0
	s_cselect_b64 s[2:3], -1, 0
	s_and_b64 s[4:5], s[2:3], exec
	s_cselect_b32 s4, s28, s7
	s_sub_i32 s11, s13, s12
	s_sub_i32 s5, s11, s80
	s_ashr_i32 s7, s6, 31
	s_add_i32 s4, s5, s4
	s_waitcnt lgkmcnt(0)
	s_add_i32 s12, s4, s8
	s_lshl_b64 s[4:5], s[6:7], 2
	s_add_u32 s8, s49, s4
	s_addc_u32 s9, s50, s5
	v_mov_b32_e32 v1, 0
	v_mov_b32_e32 v2, s12
	global_store_dword v1, v2, s[8:9]
	v_readlane_b32 s8, v37, 14
	v_readlane_b32 s9, v37, 15
	s_load_dword s7, s[8:9], 0x0
	s_sub_i32 s8, s11, s81
	s_add_i32 s8, s8, s10
	s_add_i32 s8, s8, 1
	s_cmp_lg_u64 s[2:3], 0
	s_subb_u32 s2, s8, 0
	s_waitcnt lgkmcnt(0)
	s_add_i32 s7, s2, s7
	s_add_u32 s2, s20, s4
	s_addc_u32 s3, s48, s5
	v_mov_b32_e32 v2, s7
	global_store_dword v1, v2, s[2:3]
.LBB0_269:
	s_or_b64 exec, exec, s[0:1]
	v_readlane_b32 s0, v37, 4
	s_mul_i32 s0, s0, 0xcccccccd
	s_add_i32 s0, s0, 0x19999998
	s_mov_b32 s1, 0x19999998
	v_alignbit_b32 v1, s0, s0, 1
	v_cmp_lt_u32_e32 vcc, s1, v1
	s_mov_b64 s[2:3], 0
	s_mov_b64 s[0:1], 0
	s_barrier
	s_cbranch_vccz .LBB0_273
; %bb.270:
	s_and_b64 vcc, exec, s[2:3]
	s_cbranch_vccnz .LBB0_284
.LBB0_271:
	s_and_b64 vcc, exec, s[0:1]
	s_cbranch_vccnz .LBB0_295
.LBB0_272:
	s_endpgm
.LBB0_273:
	s_ashr_i32 s7, s6, 31
	s_lshl_b64 s[0:1], s[6:7], 2
	s_add_u32 s4, s49, s0
	s_addc_u32 s5, s50, s1
	v_mov_b32_e32 v3, 0
	s_add_u32 s0, s20, s0
	s_addc_u32 s1, s48, s1
	global_load_dword v1, v3, s[4:5]
	global_load_dword v2, v3, s[0:1]
	v_readlane_b32 s0, v37, 12
	v_readlane_b32 s1, v37, 13
	s_waitcnt vmcnt(1)
	s_nop 3
	global_store_dword v3, v1, s[0:1]
	v_readlane_b32 s0, v37, 14
	v_readlane_b32 s1, v37, 15
	s_waitcnt vmcnt(1)
	s_nop 3
	global_store_dword v3, v2, s[0:1]
	s_mov_b64 s[4:5], exec
	v_readlane_b32 s0, v37, 16
	v_readlane_b32 s1, v37, 17
	s_and_b64 s[0:1], s[4:5], s[0:1]
	s_mov_b64 exec, s[0:1]
	s_cbranch_execz .LBB0_283
; %bb.274:
	v_subrev_u32_e32 v9, 27, v1
	v_xad_u32 v1, v0, -1, s82
	s_movk_i32 s0, 0xff
	v_subrev_u32_e32 v8, 26, v2
	v_sub_f32_e64 v2, 1.0, s76
	v_cmp_lt_u32_e32 vcc, s0, v1
	s_mov_b64 s[0:1], 0
	v_mov_b64_e32 v[4:5], s[76:77]
                                        ; implicit-def: $vgpr6
	s_and_saveexec_b64 s[6:7], vcc
	s_xor_b64 s[6:7], exec, s[6:7]
	s_cbranch_execnz .LBB0_277
; %bb.275:
	s_andn2_saveexec_b64 s[6:7], s[6:7]
	s_cbranch_execnz .LBB0_280
.LBB0_276:
	s_or_b64 exec, exec, s[6:7]
	s_and_b64 exec, exec, s[0:1]
	s_cbranch_execnz .LBB0_281
	s_branch .LBB0_283
.LBB0_277:
	v_lshrrev_b32_e32 v1, 8, v1
	s_abs_i32 s12, s80
	v_add_u32_e32 v10, 1, v1
	v_cvt_f32_u32_e32 v1, s12
	s_sub_i32 s0, 0, s12
	v_and_b32_e32 v11, 0x1fffffe, v10
	v_mov_b32_e32 v3, v2
	v_rcp_iflag_f32_e32 v1, v1
	s_mov_b32 s13, s80
	s_mov_b32 s14, s78
	;; [unrolled: 1-line block ×3, first 2 shown]
	v_mul_f32_e32 v1, 0x4f7ffffe, v1
	v_cvt_u32_f32_e32 v4, v1
	v_add_u32_e32 v1, 0x100, v0
	s_mov_b32 s9, s76
	s_ashr_i32 s15, s80, 31
	v_mul_lo_u32 v5, s0, v4
	v_mul_hi_u32 v5, v4, v5
	v_add_u32_e32 v12, v4, v5
	v_mov_b32_e32 v5, 0
	s_mov_b64 s[10:11], 0
	v_mov_b32_e32 v13, s80
	v_mov_b32_e32 v14, s80
	;; [unrolled: 1-line block ×3, first 2 shown]
	v_mov_b64_e32 v[6:7], v[0:1]
.LBB0_278:                              ; =>This Inner Loop Header: Depth=1
	v_add_u32_e32 v21, 1, v6
	v_not_b32_e32 v16, v6
	v_add_u32_e32 v1, 1, v7
	v_not_b32_e32 v17, v7
	v_mov_b32_e32 v4, v6
	v_max_i32_e32 v22, v21, v16
	v_ashrrev_i32_e32 v18, 31, v21
	v_ashrrev_i32_e32 v19, 31, v1
	v_max_i32_e32 v23, v1, v17
	v_lshl_add_u64 v[16:17], v[4:5], 2, s[22:23]
	v_mov_b32_e32 v4, v7
	v_mul_hi_u32 v25, v22, v12
	v_xor_b32_e32 v24, s15, v18
	v_xor_b32_e32 v26, s15, v19
	v_lshl_add_u64 v[18:19], v[4:5], 2, s[22:23]
	v_mul_lo_u32 v4, v25, s12
	v_mul_hi_u32 v27, v23, v12
	v_sub_u32_e32 v4, v22, v4
	v_add_u32_e32 v28, 1, v25
	v_mul_lo_u32 v29, v27, s12
	v_cmp_le_u32_e32 vcc, s12, v4
	v_sub_u32_e32 v22, v23, v29
	v_add_u32_e32 v30, 1, v27
	v_cndmask_b32_e32 v23, v25, v28, vcc
	v_subrev_u32_e32 v25, s12, v4
	v_cmp_le_u32_e64 s[0:1], s12, v22
	v_subrev_u32_e32 v28, s12, v22
	v_cndmask_b32_e32 v4, v4, v25, vcc
	v_cndmask_b32_e64 v27, v27, v30, s[0:1]
	v_add_u32_e32 v25, 1, v23
	v_cndmask_b32_e64 v22, v22, v28, s[0:1]
	v_cmp_le_u32_e32 vcc, s12, v4
	v_add_u32_e32 v28, 1, v27
	global_load_dword v20, v[16:17], off
	v_cndmask_b32_e32 v4, v23, v25, vcc
	v_cmp_le_u32_e32 vcc, s12, v22
	v_xor_b32_e32 v4, v4, v24
	v_sub_u32_e32 v4, v4, v24
	v_cndmask_b32_e32 v22, v27, v28, vcc
	v_xor_b32_e32 v22, v22, v26
	v_sub_u32_e32 v22, v22, v26
	v_mul_lo_u32 v23, v4, s80
	v_mul_lo_u32 v24, v22, s13
	v_sub_u32_e32 v21, v21, v23
	v_add_u32_e32 v4, v8, v4
	v_sub_u32_e32 v1, v1, v24
	v_cmp_eq_u32_e64 s[0:1], 0, v21
	v_add_u32_e32 v22, v8, v22
	v_cmp_eq_u32_e32 vcc, 0, v1
	v_cndmask_b32_e64 v21, v21, v14, s[0:1]
	v_subbrev_co_u32_e64 v4, s[0:1], 0, v4, s[0:1]
	v_cndmask_b32_e32 v1, v1, v13, vcc
	v_subbrev_co_u32_e32 v22, vcc, 0, v22, vcc
	v_mul_lo_u32 v4, v4, s78
	v_mul_lo_u32 v23, v22, s14
	v_add3_u32 v22, v9, v21, v4
	v_add3_u32 v24, v9, v1, v23
	v_ashrrev_i32_e32 v23, 31, v22
	v_ashrrev_i32_e32 v25, 31, v24
	v_lshl_add_u64 v[22:23], v[22:23], 2, s[24:25]
	v_lshl_add_u64 v[24:25], v[24:25], 2, s[24:25]
	global_load_dword v26, v[22:23], off
	global_load_dword v27, v[24:25], off
	;; [unrolled: 1-line block ×3, first 2 shown]
	v_add_u32_e32 v15, -2, v15
	v_cmp_eq_u32_e32 vcc, 0, v15
	v_add_u32_e32 v6, 0x200, v6
	v_add_u32_e32 v7, 0x200, v7
	s_or_b64 s[10:11], vcc, s[10:11]
	s_waitcnt vmcnt(1)
	v_pk_mul_f32 v[22:23], v[2:3], v[26:27]
	s_waitcnt vmcnt(0)
	v_pk_fma_f32 v[20:21], s[8:9], v[20:21], v[22:23]
	global_store_dword v[16:17], v20, off
	global_store_dword v[18:19], v21, off
	s_andn2_b64 exec, exec, s[10:11]
	s_cbranch_execnz .LBB0_278
; %bb.279:
	s_or_b64 exec, exec, s[10:11]
	v_cmp_ne_u32_e32 vcc, v10, v11
	v_lshl_add_u32 v6, v11, 8, v0
	v_mov_b64_e32 v[4:5], s[76:77]
	s_and_b64 s[0:1], vcc, exec
	s_andn2_saveexec_b64 s[6:7], s[6:7]
	s_cbranch_execz .LBB0_276
.LBB0_280:
	s_or_b64 s[0:1], s[0:1], exec
	v_mov_b32_e32 v6, v0
	s_or_b64 exec, exec, s[6:7]
	s_and_b64 exec, exec, s[0:1]
	s_cbranch_execz .LBB0_283
.LBB0_281:
	s_abs_i32 s8, s80
	v_cvt_f32_u32_e32 v1, s8
	v_mov_b32_e32 v5, v2
	s_ashr_i32 s9, s80, 31
	s_sub_i32 s10, 0, s8
	v_rcp_iflag_f32_e32 v2, v1
	v_readlane_b32 s6, v37, 0
	v_readlane_b32 s12, v37, 2
	;; [unrolled: 1-line block ×3, first 2 shown]
	v_mul_f32_e32 v2, 0x4f7ffffe, v2
	v_cvt_u32_f32_e32 v10, v2
	s_add_u32 s6, s6, s12
	v_readlane_b32 s7, v37, 1
	v_mov_b32_e32 v7, 0
	s_addc_u32 s7, s7, s13
	v_lshl_add_u64 v[2:3], v[6:7], 2, s[6:7]
	v_mul_lo_u32 v7, s10, v10
	v_mul_hi_u32 v7, v10, v7
	s_mov_b64 s[0:1], 0
	v_mov_b32_e32 v1, s80
	v_add_u32_e32 v7, v10, v7
	s_mov_b64 s[6:7], 0x400
.LBB0_282:                              ; =>This Inner Loop Header: Depth=1
	v_add_u32_e32 v11, 1, v6
	v_not_b32_e32 v12, v6
	v_max_i32_e32 v12, v11, v12
	v_mul_hi_u32 v14, v12, v7
	v_mul_lo_u32 v15, v14, s8
	v_sub_u32_e32 v12, v12, v15
	v_add_u32_e32 v16, 1, v14
	v_cmp_le_u32_e32 vcc, s8, v12
	v_subrev_u32_e32 v15, s8, v12
	v_ashrrev_i32_e32 v13, 31, v11
	v_cndmask_b32_e32 v14, v14, v16, vcc
	v_cndmask_b32_e32 v12, v12, v15, vcc
	v_add_u32_e32 v15, 1, v14
	v_cmp_le_u32_e32 vcc, s8, v12
	v_xor_b32_e32 v13, s9, v13
	global_load_dword v10, v[2:3], off
	v_cndmask_b32_e32 v12, v14, v15, vcc
	v_xor_b32_e32 v12, v12, v13
	v_sub_u32_e32 v12, v12, v13
	v_mul_lo_u32 v13, v12, s80
	v_sub_u32_e32 v11, v11, v13
	v_add_u32_e32 v12, v8, v12
	v_cmp_eq_u32_e32 vcc, 0, v11
	v_add_u32_e32 v6, 0x100, v6
	s_nop 0
	v_cndmask_b32_e32 v11, v11, v1, vcc
	v_subbrev_co_u32_e32 v12, vcc, 0, v12, vcc
	v_mul_lo_u32 v12, v12, s78
	v_add3_u32 v12, v9, v11, v12
	v_ashrrev_i32_e32 v13, 31, v12
	v_lshl_add_u64 v[12:13], v[12:13], 2, s[24:25]
	global_load_dword v11, v[12:13], off
	v_cmp_le_i32_e32 vcc, s82, v6
	s_or_b64 s[0:1], vcc, s[0:1]
	s_waitcnt vmcnt(0)
	v_pk_mul_f32 v[10:11], v[4:5], v[10:11]
	s_nop 0
	v_add_f32_e32 v10, v10, v11
	global_store_dword v[2:3], v10, off
	v_lshl_add_u64 v[2:3], v[2:3], 0, s[6:7]
	s_andn2_b64 exec, exec, s[0:1]
	s_cbranch_execnz .LBB0_282
.LBB0_283:
	s_or_b64 exec, exec, s[4:5]
	s_barrier
	s_mov_b64 s[0:1], -1
	s_and_b64 vcc, exec, s[2:3]
	s_cbranch_vccz .LBB0_271
.LBB0_284:
	v_cmp_eq_u32_e32 vcc, 0, v0
	s_and_saveexec_b64 s[0:1], vcc
	s_cbranch_execz .LBB0_286
; %bb.285:
	s_ashr_i32 s47, s46, 31
	s_lshl_b64 s[4:5], s[46:47], 2
	s_mul_i32 s2, s46, s77
	s_add_u32 s6, s91, s4
	s_addc_u32 s7, s51, s5
	s_ashr_i32 s3, s2, 31
	v_mov_b32_e32 v1, 0
	s_lshl_b64 s[2:3], s[2:3], 2
	global_load_dword v2, v1, s[6:7]
	s_add_u32 s6, s49, s2
	s_addc_u32 s7, s50, s3
	s_add_u32 s4, s33, s4
	s_addc_u32 s5, s44, s5
	global_load_dword v3, v1, s[4:5]
	s_add_u32 s2, s20, s2
	s_addc_u32 s3, s48, s3
	s_waitcnt vmcnt(1)
	global_store_dword v1, v2, s[6:7]
	s_waitcnt vmcnt(1)
	global_store_dword v1, v3, s[2:3]
.LBB0_286:
	s_or_b64 exec, exec, s[0:1]
	v_cmp_gt_i32_e32 vcc, s82, v0
	s_and_saveexec_b64 s[4:5], vcc
	s_cbranch_execz .LBB0_294
; %bb.287:
	s_ashr_i32 s47, s46, 31
	s_lshl_b64 s[0:1], s[46:47], 2
	s_add_u32 s2, s91, s0
	s_addc_u32 s3, s51, s1
	v_mov_b32_e32 v1, 0
	s_add_u32 s0, s33, s0
	s_addc_u32 s1, s44, s1
	global_load_dword v2, v1, s[2:3]
	global_load_dword v3, v1, s[0:1]
	v_xad_u32 v1, v0, -1, s82
	s_movk_i32 s0, 0xff
	v_cmp_lt_u32_e32 vcc, s0, v1
	s_mov_b64 s[0:1], -1
	s_waitcnt vmcnt(1)
	v_subrev_u32_e32 v5, 26, v2
	s_waitcnt vmcnt(0)
	v_subrev_u32_e32 v4, 26, v3
	s_and_saveexec_b64 s[6:7], vcc
	s_cbranch_execz .LBB0_291
; %bb.288:
	s_abs_i32 s10, s80
	v_cvt_f32_u32_e32 v2, s10
	v_lshrrev_b32_e32 v3, 8, v1
	s_sub_i32 s0, 0, s10
	v_add_u32_e32 v7, 1, v3
	v_rcp_iflag_f32_e32 v2, v2
	v_add_u32_e32 v1, 0x100, v0
	v_and_b32_e32 v8, 0x1fffffe, v7
	s_mov_b32 s11, s80
	v_mul_f32_e32 v2, 0x4f7ffffe, v2
	v_cvt_u32_f32_e32 v2, v2
	s_mov_b32 s12, s78
	v_add_u32_e32 v6, -1, v5
	s_ashr_i32 s13, s80, 31
	v_mul_lo_u32 v3, s0, v2
	v_mul_hi_u32 v3, v2, v3
	v_add_u32_e32 v9, v2, v3
	s_mov_b64 s[8:9], 0
	v_mov_b32_e32 v10, s80
	v_mov_b32_e32 v11, s80
	;; [unrolled: 1-line block ×3, first 2 shown]
	v_mov_b64_e32 v[2:3], v[0:1]
.LBB0_289:                              ; =>This Inner Loop Header: Depth=1
	v_add_u32_e32 v13, 1, v2
	v_not_b32_e32 v14, v2
	v_add_u32_e32 v1, 1, v3
	v_not_b32_e32 v15, v3
	v_max_i32_e32 v14, v13, v14
	v_max_i32_e32 v15, v1, v15
	v_mul_hi_u32 v18, v14, v9
	v_mul_hi_u32 v19, v15, v9
	v_mul_lo_u32 v20, v18, s10
	v_mul_lo_u32 v22, v19, s10
	v_sub_u32_e32 v14, v14, v20
	v_add_u32_e32 v21, 1, v18
	v_sub_u32_e32 v15, v15, v22
	v_cmp_le_u32_e32 vcc, s10, v14
	v_subrev_u32_e32 v20, s10, v14
	v_add_u32_e32 v23, 1, v19
	v_cndmask_b32_e32 v18, v18, v21, vcc
	v_cmp_le_u32_e64 s[0:1], s10, v15
	v_subrev_u32_e32 v21, s10, v15
	v_cndmask_b32_e32 v14, v14, v20, vcc
	v_cndmask_b32_e64 v19, v19, v23, s[0:1]
	v_add_u32_e32 v20, 1, v18
	v_cndmask_b32_e64 v15, v15, v21, s[0:1]
	v_cmp_le_u32_e32 vcc, s10, v14
	v_ashrrev_i32_e32 v17, 31, v1
	v_add_u32_e32 v21, 1, v19
	v_cndmask_b32_e32 v14, v18, v20, vcc
	v_cmp_le_u32_e32 vcc, s10, v15
	v_xor_b32_e32 v17, s13, v17
	v_ashrrev_i32_e32 v16, 31, v13
	v_cndmask_b32_e32 v15, v19, v21, vcc
	v_xor_b32_e32 v15, v15, v17
	v_xor_b32_e32 v16, s13, v16
	v_sub_u32_e32 v19, v15, v17
	v_xor_b32_e32 v14, v14, v16
	v_mul_lo_u32 v19, v19, s11
	v_sub_u32_e32 v18, v14, v16
	v_sub_u32_e32 v1, v1, v19
	v_mul_lo_u32 v18, v18, s80
	v_cmp_eq_u32_e32 vcc, 0, v1
	v_sub_u32_e32 v13, v13, v18
	v_add_u32_e32 v12, -2, v12
	v_subb_co_u32_e64 v18, s[0:1], v15, v17, vcc
	v_cmp_eq_u32_e64 s[0:1], 0, v13
	v_add_u32_e32 v15, v4, v18
	v_cndmask_b32_e32 v1, v1, v10, vcc
	v_subb_co_u32_e64 v19, s[2:3], v14, v16, s[0:1]
	v_add_u32_e32 v14, v4, v19
	v_cndmask_b32_e64 v13, v13, v11, s[0:1]
	v_mul_lo_u32 v14, v14, s78
	v_mul_lo_u32 v15, v15, s12
	v_add3_u32 v14, v13, v6, v14
	v_add3_u32 v16, v1, v6, v15
	v_ashrrev_i32_e32 v15, 31, v14
	v_ashrrev_i32_e32 v17, 31, v16
	v_lshl_add_u64 v[14:15], v[14:15], 2, s[24:25]
	v_lshl_add_u64 v[16:17], v[16:17], 2, s[24:25]
	global_load_dword v20, v[14:15], off
	global_load_dword v21, v[16:17], off
	v_mul_lo_u32 v14, v19, s80
	v_mul_lo_u32 v15, v18, s11
	v_add3_u32 v14, v13, v14, -1
	v_cmp_eq_u32_e32 vcc, 0, v12
	v_add3_u32 v16, v1, v15, -1
	v_ashrrev_i32_e32 v15, 31, v14
	v_add_u32_e32 v3, 0x200, v3
	v_add_u32_e32 v2, 0x200, v2
	s_or_b64 s[8:9], vcc, s[8:9]
	v_ashrrev_i32_e32 v17, 31, v16
	v_lshl_add_u64 v[14:15], v[14:15], 2, s[22:23]
	v_lshl_add_u64 v[16:17], v[16:17], 2, s[22:23]
	s_waitcnt vmcnt(1)
	global_store_dword v[14:15], v20, off
	s_waitcnt vmcnt(1)
	global_store_dword v[16:17], v21, off
	s_andn2_b64 exec, exec, s[8:9]
	s_cbranch_execnz .LBB0_289
; %bb.290:
	s_or_b64 exec, exec, s[8:9]
	v_cmp_ne_u32_e32 vcc, v7, v8
	v_lshl_add_u32 v0, v8, 8, v0
	s_orn2_b64 s[0:1], vcc, exec
.LBB0_291:
	s_or_b64 exec, exec, s[6:7]
	s_and_b64 exec, exec, s[0:1]
	s_cbranch_execz .LBB0_294
; %bb.292:
	s_abs_i32 s6, s80
	v_cvt_f32_u32_e32 v1, s6
	s_sub_i32 s0, 0, s6
	s_ashr_i32 s7, s80, 31
	s_mov_b64 s[2:3], 0
	v_rcp_iflag_f32_e32 v1, v1
	s_nop 0
	v_mul_f32_e32 v1, 0x4f7ffffe, v1
	v_cvt_u32_f32_e32 v2, v1
	v_add_u32_e32 v1, -1, v5
	v_mul_lo_u32 v3, s0, v2
	v_mul_hi_u32 v3, v2, v3
	v_add_u32_e32 v2, v2, v3
	v_mov_b32_e32 v3, s80
.LBB0_293:                              ; =>This Inner Loop Header: Depth=1
	v_add_u32_e32 v5, 1, v0
	v_not_b32_e32 v6, v0
	v_max_i32_e32 v6, v5, v6
	v_mul_hi_u32 v8, v6, v2
	v_mul_lo_u32 v9, v8, s6
	v_sub_u32_e32 v6, v6, v9
	v_add_u32_e32 v10, 1, v8
	v_cmp_le_u32_e32 vcc, s6, v6
	v_subrev_u32_e32 v9, s6, v6
	v_ashrrev_i32_e32 v7, 31, v5
	v_cndmask_b32_e32 v8, v8, v10, vcc
	v_cndmask_b32_e32 v6, v6, v9, vcc
	v_add_u32_e32 v9, 1, v8
	v_cmp_le_u32_e32 vcc, s6, v6
	v_xor_b32_e32 v7, s7, v7
	v_add_u32_e32 v0, 0x100, v0
	v_cndmask_b32_e32 v6, v8, v9, vcc
	v_xor_b32_e32 v6, v6, v7
	v_sub_u32_e32 v8, v6, v7
	v_mul_lo_u32 v8, v8, s80
	v_sub_u32_e32 v5, v5, v8
	v_cmp_eq_u32_e32 vcc, 0, v5
	s_nop 1
	v_subb_co_u32_e64 v7, s[0:1], v6, v7, vcc
	v_cndmask_b32_e32 v6, v5, v3, vcc
	v_add_u32_e32 v5, v4, v7
	v_mul_lo_u32 v5, v5, s78
	v_add3_u32 v8, v6, v1, v5
	v_ashrrev_i32_e32 v9, 31, v8
	v_lshl_add_u64 v[8:9], v[8:9], 2, s[24:25]
	global_load_dword v5, v[8:9], off
	v_mul_lo_u32 v8, v7, s80
	v_ashrrev_i32_e32 v9, 31, v8
	v_ashrrev_i32_e32 v7, 31, v6
	v_cmp_le_i32_e32 vcc, s82, v0
	v_lshl_add_u64 v[6:7], v[8:9], 0, v[6:7]
	s_or_b64 s[2:3], vcc, s[2:3]
	v_lshl_add_u64 v[6:7], v[6:7], 2, s[22:23]
	s_waitcnt vmcnt(0)
	global_store_dword v[6:7], v5, off offset:-4
	s_andn2_b64 exec, exec, s[2:3]
	s_cbranch_execnz .LBB0_293
.LBB0_294:
	s_or_b64 exec, exec, s[4:5]
	s_barrier
	s_cbranch_execz .LBB0_272
.LBB0_295:
	s_endpgm
	.section	.rodata,"a",@progbits
	.p2align	6, 0x0
	.amdhsa_kernel _Z2hwi13params_commonPKfPiS2_S2_S2_S2_S2_S2_S2_PfS3_S3_S3_S3_S3_S3_S3_S3_S3_S3_S3_S3_S3_S3_S3_S3_S3_S3_S3_S3_S3_
		.amdhsa_group_segment_fixed_size 0
		.amdhsa_private_segment_fixed_size 0
		.amdhsa_kernarg_size 640
		.amdhsa_user_sgpr_count 2
		.amdhsa_user_sgpr_dispatch_ptr 0
		.amdhsa_user_sgpr_queue_ptr 0
		.amdhsa_user_sgpr_kernarg_segment_ptr 1
		.amdhsa_user_sgpr_dispatch_id 0
		.amdhsa_user_sgpr_kernarg_preload_length 0
		.amdhsa_user_sgpr_kernarg_preload_offset 0
		.amdhsa_user_sgpr_private_segment_size 0
		.amdhsa_uses_dynamic_stack 0
		.amdhsa_enable_private_segment 0
		.amdhsa_system_sgpr_workgroup_id_x 1
		.amdhsa_system_sgpr_workgroup_id_y 0
		.amdhsa_system_sgpr_workgroup_id_z 0
		.amdhsa_system_sgpr_workgroup_info 0
		.amdhsa_system_vgpr_workitem_id 0
		.amdhsa_next_free_vgpr 38
		.amdhsa_next_free_sgpr 100
		.amdhsa_accum_offset 40
		.amdhsa_reserve_vcc 1
		.amdhsa_float_round_mode_32 0
		.amdhsa_float_round_mode_16_64 0
		.amdhsa_float_denorm_mode_32 3
		.amdhsa_float_denorm_mode_16_64 3
		.amdhsa_dx10_clamp 1
		.amdhsa_ieee_mode 1
		.amdhsa_fp16_overflow 0
		.amdhsa_tg_split 0
		.amdhsa_exception_fp_ieee_invalid_op 0
		.amdhsa_exception_fp_denorm_src 0
		.amdhsa_exception_fp_ieee_div_zero 0
		.amdhsa_exception_fp_ieee_overflow 0
		.amdhsa_exception_fp_ieee_underflow 0
		.amdhsa_exception_fp_ieee_inexact 0
		.amdhsa_exception_int_div_zero 0
	.end_amdhsa_kernel
	.text
.Lfunc_end0:
	.size	_Z2hwi13params_commonPKfPiS2_S2_S2_S2_S2_S2_S2_PfS3_S3_S3_S3_S3_S3_S3_S3_S3_S3_S3_S3_S3_S3_S3_S3_S3_S3_S3_S3_S3_, .Lfunc_end0-_Z2hwi13params_commonPKfPiS2_S2_S2_S2_S2_S2_S2_PfS3_S3_S3_S3_S3_S3_S3_S3_S3_S3_S3_S3_S3_S3_S3_S3_S3_S3_S3_S3_S3_
                                        ; -- End function
	.set _Z2hwi13params_commonPKfPiS2_S2_S2_S2_S2_S2_S2_PfS3_S3_S3_S3_S3_S3_S3_S3_S3_S3_S3_S3_S3_S3_S3_S3_S3_S3_S3_S3_S3_.num_vgpr, 38
	.set _Z2hwi13params_commonPKfPiS2_S2_S2_S2_S2_S2_S2_PfS3_S3_S3_S3_S3_S3_S3_S3_S3_S3_S3_S3_S3_S3_S3_S3_S3_S3_S3_S3_S3_.num_agpr, 0
	.set _Z2hwi13params_commonPKfPiS2_S2_S2_S2_S2_S2_S2_PfS3_S3_S3_S3_S3_S3_S3_S3_S3_S3_S3_S3_S3_S3_S3_S3_S3_S3_S3_S3_S3_.numbered_sgpr, 100
	.set _Z2hwi13params_commonPKfPiS2_S2_S2_S2_S2_S2_S2_PfS3_S3_S3_S3_S3_S3_S3_S3_S3_S3_S3_S3_S3_S3_S3_S3_S3_S3_S3_S3_S3_.num_named_barrier, 0
	.set _Z2hwi13params_commonPKfPiS2_S2_S2_S2_S2_S2_S2_PfS3_S3_S3_S3_S3_S3_S3_S3_S3_S3_S3_S3_S3_S3_S3_S3_S3_S3_S3_S3_S3_.private_seg_size, 0
	.set _Z2hwi13params_commonPKfPiS2_S2_S2_S2_S2_S2_S2_PfS3_S3_S3_S3_S3_S3_S3_S3_S3_S3_S3_S3_S3_S3_S3_S3_S3_S3_S3_S3_S3_.uses_vcc, 1
	.set _Z2hwi13params_commonPKfPiS2_S2_S2_S2_S2_S2_S2_PfS3_S3_S3_S3_S3_S3_S3_S3_S3_S3_S3_S3_S3_S3_S3_S3_S3_S3_S3_S3_S3_.uses_flat_scratch, 0
	.set _Z2hwi13params_commonPKfPiS2_S2_S2_S2_S2_S2_S2_PfS3_S3_S3_S3_S3_S3_S3_S3_S3_S3_S3_S3_S3_S3_S3_S3_S3_S3_S3_S3_S3_.has_dyn_sized_stack, 0
	.set _Z2hwi13params_commonPKfPiS2_S2_S2_S2_S2_S2_S2_PfS3_S3_S3_S3_S3_S3_S3_S3_S3_S3_S3_S3_S3_S3_S3_S3_S3_S3_S3_S3_S3_.has_recursion, 0
	.set _Z2hwi13params_commonPKfPiS2_S2_S2_S2_S2_S2_S2_PfS3_S3_S3_S3_S3_S3_S3_S3_S3_S3_S3_S3_S3_S3_S3_S3_S3_S3_S3_S3_S3_.has_indirect_call, 0
	.section	.AMDGPU.csdata,"",@progbits
; Kernel info:
; codeLenInByte = 24432
; TotalNumSgprs: 106
; NumVgprs: 38
; NumAgprs: 0
; TotalNumVgprs: 38
; ScratchSize: 0
; MemoryBound: 0
; FloatMode: 240
; IeeeMode: 1
; LDSByteSize: 0 bytes/workgroup (compile time only)
; SGPRBlocks: 13
; VGPRBlocks: 4
; NumSGPRsForWavesPerEU: 106
; NumVGPRsForWavesPerEU: 38
; AccumOffset: 40
; Occupancy: 7
; WaveLimiterHint : 1
; COMPUTE_PGM_RSRC2:SCRATCH_EN: 0
; COMPUTE_PGM_RSRC2:USER_SGPR: 2
; COMPUTE_PGM_RSRC2:TRAP_HANDLER: 0
; COMPUTE_PGM_RSRC2:TGID_X_EN: 1
; COMPUTE_PGM_RSRC2:TGID_Y_EN: 0
; COMPUTE_PGM_RSRC2:TGID_Z_EN: 0
; COMPUTE_PGM_RSRC2:TIDIG_COMP_CNT: 0
; COMPUTE_PGM_RSRC3_GFX90A:ACCUM_OFFSET: 9
; COMPUTE_PGM_RSRC3_GFX90A:TG_SPLIT: 0
	.text
	.p2alignl 6, 3212836864
	.fill 256, 4, 3212836864
	.section	.AMDGPU.gpr_maximums,"",@progbits
	.set amdgpu.max_num_vgpr, 0
	.set amdgpu.max_num_agpr, 0
	.set amdgpu.max_num_sgpr, 0
	.text
	.type	__hip_cuid_e2fb633586c2e3a9,@object ; @__hip_cuid_e2fb633586c2e3a9
	.section	.bss,"aw",@nobits
	.globl	__hip_cuid_e2fb633586c2e3a9
__hip_cuid_e2fb633586c2e3a9:
	.byte	0                               ; 0x0
	.size	__hip_cuid_e2fb633586c2e3a9, 1

	.ident	"AMD clang version 22.0.0git (https://github.com/RadeonOpenCompute/llvm-project roc-7.2.4 26084 f58b06dce1f9c15707c5f808fd002e18c2accf7e)"
	.section	".note.GNU-stack","",@progbits
	.addrsig
	.addrsig_sym __hip_cuid_e2fb633586c2e3a9
	.amdgpu_metadata
---
amdhsa.kernels:
  - .agpr_count:     0
    .args:
      - .offset:         0
        .size:           4
        .value_kind:     by_value
      - .offset:         4
        .size:           388
        .value_kind:     by_value
      - .actual_access:  read_only
        .address_space:  global
        .offset:         392
        .size:           8
        .value_kind:     global_buffer
      - .address_space:  global
        .offset:         400
        .size:           8
        .value_kind:     global_buffer
      - .address_space:  global
        .offset:         408
        .size:           8
        .value_kind:     global_buffer
      - .address_space:  global
        .offset:         416
        .size:           8
        .value_kind:     global_buffer
      - .address_space:  global
        .offset:         424
        .size:           8
        .value_kind:     global_buffer
      - .address_space:  global
        .offset:         432
        .size:           8
        .value_kind:     global_buffer
      - .address_space:  global
        .offset:         440
        .size:           8
        .value_kind:     global_buffer
      - .address_space:  global
        .offset:         448
        .size:           8
        .value_kind:     global_buffer
      - .address_space:  global
        .offset:         456
        .size:           8
        .value_kind:     global_buffer
      - .address_space:  global
        .offset:         464
        .size:           8
        .value_kind:     global_buffer
      - .address_space:  global
        .offset:         472
        .size:           8
        .value_kind:     global_buffer
      - .address_space:  global
        .offset:         480
        .size:           8
        .value_kind:     global_buffer
      - .address_space:  global
        .offset:         488
        .size:           8
        .value_kind:     global_buffer
      - .address_space:  global
        .offset:         496
        .size:           8
        .value_kind:     global_buffer
      - .address_space:  global
        .offset:         504
        .size:           8
        .value_kind:     global_buffer
      - .address_space:  global
        .offset:         512
        .size:           8
        .value_kind:     global_buffer
      - .address_space:  global
        .offset:         520
        .size:           8
        .value_kind:     global_buffer
      - .address_space:  global
        .offset:         528
        .size:           8
        .value_kind:     global_buffer
      - .address_space:  global
        .offset:         536
        .size:           8
        .value_kind:     global_buffer
      - .address_space:  global
        .offset:         544
        .size:           8
        .value_kind:     global_buffer
      - .address_space:  global
        .offset:         552
        .size:           8
        .value_kind:     global_buffer
      - .address_space:  global
        .offset:         560
        .size:           8
        .value_kind:     global_buffer
      - .address_space:  global
        .offset:         568
        .size:           8
        .value_kind:     global_buffer
      - .address_space:  global
        .offset:         576
        .size:           8
        .value_kind:     global_buffer
      - .address_space:  global
        .offset:         584
        .size:           8
        .value_kind:     global_buffer
      - .address_space:  global
        .offset:         592
        .size:           8
        .value_kind:     global_buffer
      - .address_space:  global
        .offset:         600
        .size:           8
        .value_kind:     global_buffer
      - .address_space:  global
        .offset:         608
        .size:           8
        .value_kind:     global_buffer
      - .address_space:  global
        .offset:         616
        .size:           8
        .value_kind:     global_buffer
      - .address_space:  global
        .offset:         624
        .size:           8
        .value_kind:     global_buffer
      - .address_space:  global
        .offset:         632
        .size:           8
        .value_kind:     global_buffer
    .group_segment_fixed_size: 0
    .kernarg_segment_align: 8
    .kernarg_segment_size: 640
    .language:       OpenCL C
    .language_version:
      - 2
      - 0
    .max_flat_workgroup_size: 1024
    .name:           _Z2hwi13params_commonPKfPiS2_S2_S2_S2_S2_S2_S2_PfS3_S3_S3_S3_S3_S3_S3_S3_S3_S3_S3_S3_S3_S3_S3_S3_S3_S3_S3_S3_S3_
    .private_segment_fixed_size: 0
    .sgpr_count:     106
    .sgpr_spill_count: 72
    .symbol:         _Z2hwi13params_commonPKfPiS2_S2_S2_S2_S2_S2_S2_PfS3_S3_S3_S3_S3_S3_S3_S3_S3_S3_S3_S3_S3_S3_S3_S3_S3_S3_S3_S3_S3_.kd
    .uniform_work_group_size: 1
    .uses_dynamic_stack: false
    .vgpr_count:     38
    .vgpr_spill_count: 0
    .wavefront_size: 64
amdhsa.target:   amdgcn-amd-amdhsa--gfx950
amdhsa.version:
  - 1
  - 2
...

	.end_amdgpu_metadata
